;; amdgpu-corpus repo=ROCm/rocFFT kind=compiled arch=gfx950 opt=O3
	.text
	.amdgcn_target "amdgcn-amd-amdhsa--gfx950"
	.amdhsa_code_object_version 6
	.protected	bluestein_single_back_len2560_dim1_sp_op_CI_CI ; -- Begin function bluestein_single_back_len2560_dim1_sp_op_CI_CI
	.globl	bluestein_single_back_len2560_dim1_sp_op_CI_CI
	.p2align	8
	.type	bluestein_single_back_len2560_dim1_sp_op_CI_CI,@function
bluestein_single_back_len2560_dim1_sp_op_CI_CI: ; @bluestein_single_back_len2560_dim1_sp_op_CI_CI
; %bb.0:
	s_load_dwordx4 s[16:19], s[0:1], 0x28
	s_mov_b32 s3, 0
	s_waitcnt lgkmcnt(0)
	v_mov_b32_e32 v2, s16
	v_mov_b32_e32 v3, s17
	v_cmp_lt_u64_e32 vcc, s[2:3], v[2:3]
	s_and_saveexec_b64 s[4:5], vcc
	s_cbranch_execz .LBB0_2
; %bb.1:
	s_load_dwordx4 s[4:7], s[0:1], 0x18
	s_load_dwordx4 s[8:11], s[0:1], 0x0
	v_mov_b64_e32 v[68:69], s[2:3]
	v_mov_b32_e32 v2, s18
	v_mov_b32_e32 v3, s19
	s_waitcnt lgkmcnt(0)
	s_load_dwordx4 s[12:15], s[4:5], 0x0
	v_mov_b32_e32 v69, 0x1400
	v_mov_b32_e32 v115, 0xffffc800
	s_add_u32 s16, s8, 0x5000
	v_lshlrev_b32_e32 v103, 3, v0
	s_waitcnt lgkmcnt(0)
	v_mad_u64_u32 v[4:5], s[2:3], s14, v68, 0
	v_mov_b32_e32 v8, v5
	v_mad_u64_u32 v[6:7], s[2:3], s12, v0, 0
	v_mad_u64_u32 v[8:9], s[2:3], s15, v68, v[8:9]
	v_mov_b32_e32 v5, v8
	v_mov_b32_e32 v8, v7
	v_mad_u64_u32 v[8:9], s[2:3], s13, v0, v[8:9]
	v_mov_b32_e32 v7, v8
	v_lshl_add_u64 v[2:3], v[4:5], 3, v[2:3]
	v_lshl_add_u64 v[2:3], v[6:7], 3, v[2:3]
	v_mad_u64_u32 v[6:7], s[2:3], s12, v69, v[2:3]
	s_mul_i32 s2, s13, 0x1400
	s_nop 0
	v_add_u32_e32 v7, s2, v7
	global_load_dwordx2 v[4:5], v[2:3], off
	s_mul_i32 s3, s13, 0xffffc800
	global_load_dwordx2 v[2:3], v[6:7], off
	v_mad_u64_u32 v[6:7], s[14:15], s12, v69, v[6:7]
	v_add_u32_e32 v7, s2, v7
	v_mad_u64_u32 v[8:9], s[14:15], s12, v69, v[6:7]
	v_add_u32_e32 v9, s2, v9
	s_addc_u32 s17, s9, 0
	s_sub_i32 s3, s3, s12
	v_mad_u64_u32 v[10:11], s[14:15], s12, v115, v[8:9]
	v_or_b32_e32 v1, 0x1400, v103
	v_or_b32_e32 v105, 0x2800, v103
	v_add_u32_e32 v11, s3, v11
	global_load_dwordx2 v[74:75], v103, s[8:9]
	global_load_dwordx2 v[66:67], v1, s[8:9]
	v_or_b32_e32 v93, 0x3c00, v103
	v_or_b32_e32 v109, 0x1800, v103
	;; [unrolled: 1-line block ×6, first 2 shown]
	s_load_dwordx4 s[4:7], s[6:7], 0x0
	global_load_dwordx2 v[86:87], v105, s[8:9]
	global_load_dwordx2 v[84:85], v93, s[8:9]
	global_load_dwordx2 v[80:81], v109, s[8:9]
	global_load_dwordx2 v[78:79], v123, s[8:9]
	global_load_dwordx2 v[70:71], v125, s[8:9]
	global_load_dwordx2 v[54:55], v132, s[8:9]
	global_load_dwordx2 v[48:49], v135, s[8:9]
	global_load_dwordx2 v[82:83], v103, s[8:9] offset:1024
	global_load_dwordx2 v[62:63], v103, s[8:9] offset:2048
	;; [unrolled: 1-line block ×3, first 2 shown]
	global_load_dwordx2 v[12:13], v[6:7], off
	global_load_dwordx2 v[14:15], v[8:9], off
	global_load_dwordx2 v[16:17], v[10:11], off
	v_mad_u64_u32 v[6:7], s[14:15], s12, v69, v[10:11]
	v_add_u32_e32 v7, s2, v7
	global_load_dwordx2 v[8:9], v[6:7], off
	v_mad_u64_u32 v[6:7], s[14:15], s12, v69, v[6:7]
	v_add_u32_e32 v7, s2, v7
	global_load_dwordx2 v[10:11], v[6:7], off
	;; [unrolled: 3-line block ×8, first 2 shown]
	v_mad_u64_u32 v[6:7], s[14:15], s12, v69, v[6:7]
	v_or_b32_e32 v150, 0x4400, v103
	v_add_u32_e32 v7, s2, v7
	global_load_dwordx2 v[32:33], v[6:7], off
	global_load_dwordx2 v[76:77], v150, s[8:9]
	v_mad_u64_u32 v[6:7], s[14:15], s12, v69, v[6:7]
	v_add_u32_e32 v7, s2, v7
	v_mad_u64_u32 v[36:37], s[14:15], s12, v69, v[6:7]
	v_add_u32_e32 v37, s2, v37
	v_or_b32_e32 v136, 0x2000, v103
	global_load_dwordx2 v[34:35], v[6:7], off
	v_or_b32_e32 v153, 0x3400, v103
	global_load_dwordx2 v[38:39], v[36:37], off
	global_load_dwordx2 v[72:73], v136, s[8:9]
	v_mad_u64_u32 v[36:37], s[14:15], s12, v115, v[36:37]
	v_or_b32_e32 v141, 0x4800, v103
	global_load_dwordx2 v[64:65], v153, s[8:9]
	global_load_dwordx2 v[56:57], v141, s[8:9]
	v_or_b32_e32 v6, 0x200, v0
	v_add_u32_e32 v37, s3, v37
	global_load_dwordx2 v[40:41], v[36:37], off
	v_lshlrev_b32_e32 v145, 3, v6
	v_mad_u64_u32 v[36:37], s[14:15], s12, v69, v[36:37]
	v_add_u32_e32 v37, s2, v37
	global_load_dwordx2 v[60:61], v145, s[8:9]
	global_load_dwordx2 v[42:43], v[36:37], off
	v_or_b32_e32 v149, 0x2400, v103
	v_mad_u64_u32 v[36:37], s[14:15], s12, v69, v[36:37]
	global_load_dwordx2 v[58:59], v149, s[8:9]
	v_add_u32_e32 v37, s2, v37
	v_or_b32_e32 v151, 0x3800, v103
	global_load_dwordx2 v[52:53], v151, s[8:9]
	global_load_dwordx2 v[88:89], v[36:37], off
	v_mad_u64_u32 v[36:37], s[12:13], s12, v69, v[36:37]
	v_add_u32_e32 v37, s2, v37
	v_or_b32_e32 v152, 0x4c00, v103
	global_load_dwordx2 v[50:51], v152, s[8:9]
	s_waitcnt vmcnt(36)
	v_mul_f32_e32 v26, v5, v75
	global_load_dwordx2 v[36:37], v[36:37], off
	v_mul_f32_e32 v27, v4, v75
	v_fmac_f32_e32 v26, v4, v74
	s_waitcnt vmcnt(36)
	v_mul_f32_e32 v4, v3, v67
	v_fma_f32 v27, v5, v74, -v27
	v_mul_f32_e32 v5, v2, v67
	v_fmac_f32_e32 v4, v2, v66
	s_waitcnt vmcnt(25)
	v_mul_f32_e32 v2, v13, v87
	v_fma_f32 v5, v3, v66, -v5
	v_fmac_f32_e32 v2, v12, v86
	v_mul_f32_e32 v3, v12, v87
	s_waitcnt vmcnt(24)
	v_mul_f32_e32 v12, v15, v85
	v_mul_f32_e32 v7, v14, v85
	v_fma_f32 v3, v13, v86, -v3
	v_fmac_f32_e32 v12, v14, v84
	v_fma_f32 v13, v15, v84, -v7
	s_waitcnt vmcnt(23)
	v_mul_f32_e32 v14, v17, v83
	v_mul_f32_e32 v7, v16, v83
	v_fmac_f32_e32 v14, v16, v82
	v_fma_f32 v15, v17, v82, -v7
	ds_write2st64_b64 v103, v[26:27], v[14:15] offset1:2
	s_waitcnt vmcnt(22)
	v_mul_f32_e32 v14, v9, v81
	v_mul_f32_e32 v7, v8, v81
	v_fmac_f32_e32 v14, v8, v80
	v_fma_f32 v15, v9, v80, -v7
	s_waitcnt vmcnt(21)
	v_mul_f32_e32 v8, v11, v79
	v_mul_f32_e32 v7, v10, v79
	v_fmac_f32_e32 v8, v10, v78
	v_fma_f32 v9, v11, v78, -v7
	s_waitcnt vmcnt(19)
	v_mul_f32_e32 v7, v20, v63
	ds_write2st64_b64 v103, v[2:3], v[8:9] offset0:20 offset1:22
	v_fma_f32 v9, v21, v62, -v7
	s_waitcnt vmcnt(18)
	v_mul_f32_e32 v10, v23, v55
	v_mul_f32_e32 v7, v22, v55
	v_fmac_f32_e32 v10, v22, v54
	v_fma_f32 v11, v23, v54, -v7
	s_waitcnt vmcnt(17)
	v_mul_f32_e32 v7, v24, v49
	v_mul_f32_e32 v2, v19, v71
	;; [unrolled: 1-line block ×3, first 2 shown]
	ds_write2st64_b64 v103, v[14:15], v[10:11] offset0:12 offset1:14
	v_fma_f32 v11, v25, v48, -v7
	v_fmac_f32_e32 v2, v18, v70
	v_fma_f32 v3, v19, v70, -v3
	s_waitcnt vmcnt(13)
	v_mul_f32_e32 v14, v29, v77
	v_mul_f32_e32 v7, v28, v77
	v_fmac_f32_e32 v14, v28, v76
	v_fma_f32 v15, v29, v76, -v7
	v_mul_f32_e32 v8, v21, v63
	ds_write2st64_b64 v103, v[2:3], v[14:15] offset0:32 offset1:34
	v_mul_f32_e32 v2, v31, v47
	v_mul_f32_e32 v3, v30, v47
	v_fmac_f32_e32 v8, v20, v62
	v_fmac_f32_e32 v2, v30, v46
	v_fma_f32 v3, v31, v46, -v3
	v_mul_f32_e32 v10, v25, v49
	ds_write2st64_b64 v103, v[8:9], v[2:3] offset0:4 offset1:6
	s_waitcnt vmcnt(9)
	v_mul_f32_e32 v8, v35, v65
	v_mul_f32_e32 v7, v34, v65
	v_fmac_f32_e32 v10, v24, v48
	v_fmac_f32_e32 v8, v34, v64
	v_fma_f32 v9, v35, v64, -v7
	s_waitcnt vmcnt(8)
	v_mul_f32_e32 v7, v38, v57
	ds_write2st64_b64 v103, v[10:11], v[8:9] offset0:24 offset1:26
	v_fma_f32 v9, v39, v56, -v7
	s_waitcnt vmcnt(6)
	v_mul_f32_e32 v10, v41, v61
	v_mul_f32_e32 v7, v40, v61
	v_fmac_f32_e32 v10, v40, v60
	v_fma_f32 v11, v41, v60, -v7
	v_mul_f32_e32 v2, v33, v73
	v_mul_f32_e32 v3, v32, v73
	ds_write2st64_b64 v103, v[10:11], v[4:5] offset0:8 offset1:10
	s_waitcnt vmcnt(4)
	v_mul_f32_e32 v4, v43, v59
	v_mul_f32_e32 v5, v42, v59
	v_fmac_f32_e32 v2, v32, v72
	v_fma_f32 v3, v33, v72, -v3
	v_fmac_f32_e32 v4, v42, v58
	v_fma_f32 v5, v43, v58, -v5
	ds_write2st64_b64 v103, v[2:3], v[4:5] offset0:16 offset1:18
	s_waitcnt vmcnt(2)
	v_mul_f32_e32 v2, v89, v53
	v_mul_f32_e32 v3, v88, v53
	v_fmac_f32_e32 v2, v88, v52
	v_fma_f32 v3, v89, v52, -v3
	v_mul_f32_e32 v8, v39, v57
	ds_write2st64_b64 v103, v[2:3], v[12:13] offset0:28 offset1:30
	s_waitcnt vmcnt(0)
	v_mul_f32_e32 v2, v37, v51
	v_mul_f32_e32 v3, v36, v51
	v_fmac_f32_e32 v8, v38, v56
	v_fmac_f32_e32 v2, v36, v50
	v_fma_f32 v3, v37, v50, -v3
	ds_write2st64_b64 v103, v[8:9], v[2:3] offset0:36 offset1:38
	s_waitcnt lgkmcnt(0)
	s_barrier
	ds_read2st64_b64 v[2:5], v103 offset1:2
	ds_read2st64_b64 v[12:15], v103 offset0:20 offset1:22
	ds_read2st64_b64 v[16:19], v103 offset0:8 offset1:10
	;; [unrolled: 1-line block ×5, first 2 shown]
	v_lshlrev_b32_e32 v10, 2, v0
	s_waitcnt lgkmcnt(4)
	v_pk_add_f32 v[8:9], v[2:3], v[12:13] neg_lo:[0,1] neg_hi:[0,1]
	v_or_b32_e32 v44, 0x80, v0
	s_waitcnt lgkmcnt(2)
	v_pk_add_f32 v[12:13], v[18:19], v[22:23] neg_lo:[0,1] neg_hi:[0,1]
	v_pk_fma_f32 v[2:3], v[2:3], 2.0, v[8:9] op_sel_hi:[1,0,1] neg_lo:[0,0,1] neg_hi:[0,0,1]
	v_pk_add_f32 v[24:25], v[8:9], v[12:13] op_sel:[0,1] op_sel_hi:[1,0] neg_lo:[0,1] neg_hi:[0,1]
	v_pk_add_f32 v[42:43], v[8:9], v[12:13] op_sel:[0,1] op_sel_hi:[1,0]
	v_pk_fma_f32 v[18:19], v[18:19], 2.0, v[12:13] op_sel_hi:[1,0,1] neg_lo:[0,0,1] neg_hi:[0,0,1]
	v_mov_b32_e32 v25, v43
	v_pk_add_f32 v[22:23], v[2:3], v[18:19] neg_lo:[0,1] neg_hi:[0,1]
	v_pk_fma_f32 v[28:29], v[8:9], 2.0, v[24:25] op_sel_hi:[1,0,1] neg_lo:[0,0,1] neg_hi:[0,0,1]
	v_pk_add_f32 v[8:9], v[4:5], v[14:15] neg_lo:[0,1] neg_hi:[0,1]
	s_waitcnt lgkmcnt(0)
	v_pk_add_f32 v[18:19], v[30:31], v[34:35] neg_lo:[0,1] neg_hi:[0,1]
	ds_read2st64_b64 v[12:15], v103 offset0:4 offset1:6
	ds_read2st64_b64 v[94:97], v103 offset0:24 offset1:26
	v_pk_fma_f32 v[26:27], v[2:3], 2.0, v[22:23] op_sel_hi:[1,0,1] neg_lo:[0,0,1] neg_hi:[0,0,1]
	v_pk_fma_f32 v[4:5], v[4:5], 2.0, v[8:9] op_sel_hi:[1,0,1] neg_lo:[0,0,1] neg_hi:[0,0,1]
	;; [unrolled: 1-line block ×3, first 2 shown]
	v_pk_add_f32 v[90:91], v[8:9], v[18:19] op_sel:[0,1] op_sel_hi:[1,0]
	v_pk_add_f32 v[2:3], v[4:5], v[2:3] neg_lo:[0,1] neg_hi:[0,1]
	ds_read2st64_b64 v[98:101], v103 offset0:16 offset1:18
	ds_read2st64_b64 v[110:113], v103 offset0:36 offset1:38
	v_pk_fma_f32 v[38:39], v[4:5], 2.0, v[2:3] op_sel_hi:[1,0,1] neg_lo:[0,0,1] neg_hi:[0,0,1]
	v_pk_add_f32 v[4:5], v[8:9], v[18:19] op_sel:[0,1] op_sel_hi:[1,0] neg_lo:[0,1] neg_hi:[0,1]
	v_pk_add_f32 v[18:19], v[32:33], v[36:37] neg_lo:[0,1] neg_hi:[0,1]
	v_mov_b32_e32 v5, v91
	v_pk_fma_f32 v[40:41], v[8:9], 2.0, v[4:5] op_sel_hi:[1,0,1] neg_lo:[0,0,1] neg_hi:[0,0,1]
	s_waitcnt lgkmcnt(2)
	v_pk_add_f32 v[8:9], v[12:13], v[94:95] neg_lo:[0,1] neg_hi:[0,1]
	v_pk_fma_f32 v[30:31], v[32:33], 2.0, v[18:19] op_sel_hi:[1,0,1] neg_lo:[0,0,1] neg_hi:[0,0,1]
	v_pk_fma_f32 v[12:13], v[12:13], 2.0, v[8:9] op_sel_hi:[1,0,1] neg_lo:[0,0,1] neg_hi:[0,0,1]
	v_pk_add_f32 v[32:33], v[8:9], v[18:19] op_sel:[0,1] op_sel_hi:[1,0] neg_lo:[0,1] neg_hi:[0,1]
	v_pk_add_f32 v[30:31], v[12:13], v[30:31] neg_lo:[0,1] neg_hi:[0,1]
	v_lshlrev_b32_e32 v89, 5, v0
	v_pk_fma_f32 v[34:35], v[12:13], 2.0, v[30:31] op_sel_hi:[1,0,1] neg_lo:[0,0,1] neg_hi:[0,0,1]
	v_pk_add_f32 v[12:13], v[8:9], v[18:19] op_sel:[0,1] op_sel_hi:[1,0]
	s_waitcnt lgkmcnt(0)
	v_pk_add_f32 v[18:19], v[98:99], v[110:111] neg_lo:[0,1] neg_hi:[0,1]
	v_mov_b32_e32 v33, v13
	v_pk_fma_f32 v[36:37], v[8:9], 2.0, v[32:33] op_sel_hi:[1,0,1] neg_lo:[0,0,1] neg_hi:[0,0,1]
	v_pk_add_f32 v[8:9], v[14:15], v[96:97] neg_lo:[0,1] neg_hi:[0,1]
	v_pk_fma_f32 v[94:95], v[98:99], 2.0, v[18:19] op_sel_hi:[1,0,1] neg_lo:[0,0,1] neg_hi:[0,0,1]
	v_pk_add_f32 v[96:97], v[8:9], v[18:19] op_sel:[0,1] op_sel_hi:[1,0] neg_lo:[0,1] neg_hi:[0,1]
	v_pk_add_f32 v[98:99], v[8:9], v[18:19] op_sel:[0,1] op_sel_hi:[1,0]
	v_pk_fma_f32 v[14:15], v[14:15], 2.0, v[8:9] op_sel_hi:[1,0,1] neg_lo:[0,0,1] neg_hi:[0,0,1]
	v_mov_b32_e32 v97, v99
	v_pk_add_f32 v[94:95], v[14:15], v[94:95] neg_lo:[0,1] neg_hi:[0,1]
	v_pk_fma_f32 v[118:119], v[8:9], 2.0, v[96:97] op_sel_hi:[1,0,1] neg_lo:[0,0,1] neg_hi:[0,0,1]
	v_pk_add_f32 v[8:9], v[16:17], v[20:21] neg_lo:[0,1] neg_hi:[0,1]
	v_pk_add_f32 v[20:21], v[100:101], v[112:113] neg_lo:[0,1] neg_hi:[0,1]
	v_pk_fma_f32 v[116:117], v[14:15], 2.0, v[94:95] op_sel_hi:[1,0,1] neg_lo:[0,0,1] neg_hi:[0,0,1]
	v_pk_fma_f32 v[16:17], v[16:17], 2.0, v[8:9] op_sel_hi:[1,0,1] neg_lo:[0,0,1] neg_hi:[0,0,1]
	;; [unrolled: 1-line block ×3, first 2 shown]
	v_or_b32_e32 v11, 0x400, v10
	v_or_b32_e32 v12, 0x600, v10
	v_pk_add_f32 v[14:15], v[16:17], v[14:15] neg_lo:[0,1] neg_hi:[0,1]
	v_lshlrev_b32_e32 v137, 5, v44
	v_lshlrev_b32_e32 v133, 3, v11
	;; [unrolled: 1-line block ×4, first 2 shown]
	s_barrier
	ds_write_b128 v89, v[26:29]
	v_pk_fma_f32 v[18:19], v[16:17], 2.0, v[14:15] op_sel_hi:[1,0,1] neg_lo:[0,0,1] neg_hi:[0,0,1]
	ds_write_b128 v89, v[22:25] offset:16
	ds_write_b128 v89, v[38:41] offset:4096
	ds_write_b128 v137, v[2:5] offset:16
	ds_write_b128 v131, v[34:37] offset:8192
	ds_write_b128 v133, v[30:33] offset:16
	ds_write_b128 v131, v[116:119] offset:12288
	ds_write_b128 v130, v[94:97] offset:16
	v_pk_add_f32 v[16:17], v[8:9], v[20:21] op_sel:[0,1] op_sel_hi:[1,0] neg_lo:[0,1] neg_hi:[0,1]
	v_pk_add_f32 v[2:3], v[8:9], v[20:21] op_sel:[0,1] op_sel_hi:[1,0]
	v_and_b32_e32 v13, 3, v0
	v_mov_b32_e32 v17, v3
	v_pk_fma_f32 v[20:21], v[8:9], 2.0, v[16:17] op_sel_hi:[1,0,1] neg_lo:[0,0,1] neg_hi:[0,0,1]
	v_mad_u64_u32 v[8:9], s[2:3], v13, 24, s[10:11]
	v_lshlrev_b32_e32 v113, 5, v6
	ds_write_b128 v89, v[18:21] offset:16384
	ds_write_b128 v113, v[14:17] offset:16
	s_waitcnt lgkmcnt(0)
	s_barrier
	global_load_dwordx4 v[2:5], v[8:9], off
	global_load_dwordx2 v[90:91], v[8:9], off offset:16
	ds_read2st64_b64 v[14:17], v103 offset0:16 offset1:18
	ds_read2st64_b64 v[18:21], v103 offset0:36 offset1:38
	;; [unrolled: 1-line block ×3, first 2 shown]
	s_movk_i32 s2, 0x1f0
	v_and_or_b32 v7, v10, s2, v13
	v_lshlrev_b32_e32 v45, 2, v44
	s_movk_i32 s2, 0x3f0
	v_lshlrev_b32_e32 v102, 2, v6
	v_and_or_b32 v6, v45, s2, v13
	s_movk_i32 s2, 0x5f0
	s_mov_b32 s8, 0x3f737871
	s_mov_b32 s12, 0x3e9e377a
	;; [unrolled: 1-line block ×6, first 2 shown]
	s_load_dwordx2 s[0:1], s[0:1], 0x38
	s_waitcnt vmcnt(1) lgkmcnt(0)
	v_pk_mul_f32 v[8:9], v[16:17], v[2:3] op_sel:[0,1]
	s_nop 0
	v_pk_fma_f32 v[26:27], v[16:17], v[2:3], v[8:9] op_sel:[0,0,1] op_sel_hi:[1,1,0] neg_lo:[0,0,1] neg_hi:[0,0,1]
	v_pk_fma_f32 v[8:9], v[16:17], v[2:3], v[8:9] op_sel:[0,0,1] op_sel_hi:[1,0,0]
	s_waitcnt vmcnt(0)
	v_pk_mul_f32 v[16:17], v[20:21], v[90:91] op_sel:[0,1]
	v_mov_b32_e32 v88, v5
	v_pk_fma_f32 v[28:29], v[20:21], v[90:91], v[16:17] op_sel:[0,0,1] op_sel_hi:[1,1,0] neg_lo:[0,0,1] neg_hi:[0,0,1]
	v_pk_fma_f32 v[30:31], v[20:21], v[90:91], v[16:17] op_sel:[0,0,1] op_sel_hi:[1,0,0]
	v_pk_mul_f32 v[16:17], v[14:15], v[2:3] op_sel:[0,1]
	v_pk_mul_f32 v[20:21], v[18:19], v[90:91] op_sel:[0,1]
	v_pk_fma_f32 v[32:33], v[14:15], v[2:3], v[16:17] op_sel:[0,0,1] op_sel_hi:[1,1,0] neg_lo:[0,0,1] neg_hi:[0,0,1]
	v_pk_fma_f32 v[34:35], v[14:15], v[2:3], v[16:17] op_sel:[0,0,1] op_sel_hi:[1,0,0]
	v_pk_mul_f32 v[14:15], v[24:25], v[88:89] op_sel_hi:[1,0]
	v_pk_fma_f32 v[38:39], v[18:19], v[90:91], v[20:21] op_sel:[0,0,1] op_sel_hi:[1,1,0] neg_lo:[0,0,1] neg_hi:[0,0,1]
	v_pk_fma_f32 v[36:37], v[24:25], v[4:5], v[14:15] op_sel:[0,0,1] op_sel_hi:[1,1,0] neg_lo:[0,0,1] neg_hi:[0,0,1]
	v_pk_fma_f32 v[24:25], v[24:25], v[4:5], v[14:15] op_sel:[0,0,1] op_sel_hi:[1,0,0]
	ds_read2st64_b64 v[14:17], v103 offset0:12 offset1:14
	v_pk_fma_f32 v[40:41], v[18:19], v[90:91], v[20:21] op_sel:[0,0,1] op_sel_hi:[1,0,0]
	ds_read2st64_b64 v[18:21], v103 offset0:32 offset1:34
	v_mov_b32_e32 v33, v35
	v_mov_b32_e32 v39, v41
	s_waitcnt lgkmcnt(1)
	v_pk_mul_f32 v[42:43], v[16:17], v[2:3] op_sel:[0,1]
	v_mov_b32_e32 v29, v31
	v_pk_fma_f32 v[94:95], v[16:17], v[2:3], v[42:43] op_sel:[0,0,1] op_sel_hi:[1,1,0] neg_lo:[0,0,1] neg_hi:[0,0,1]
	v_pk_fma_f32 v[42:43], v[16:17], v[2:3], v[42:43] op_sel:[0,0,1] op_sel_hi:[1,0,0]
	v_pk_mul_f32 v[16:17], v[22:23], v[88:89] op_sel_hi:[1,0]
	s_waitcnt lgkmcnt(0)
	v_pk_mul_f32 v[98:99], v[20:21], v[90:91] op_sel:[0,1]
	v_pk_fma_f32 v[96:97], v[22:23], v[4:5], v[16:17] op_sel:[0,0,1] op_sel_hi:[1,1,0] neg_lo:[0,0,1] neg_hi:[0,0,1]
	v_pk_fma_f32 v[22:23], v[22:23], v[4:5], v[16:17] op_sel:[0,0,1] op_sel_hi:[1,0,0]
	v_pk_mul_f32 v[16:17], v[14:15], v[2:3] op_sel:[0,1]
	v_pk_fma_f32 v[110:111], v[20:21], v[90:91], v[98:99] op_sel:[0,0,1] op_sel_hi:[1,1,0] neg_lo:[0,0,1] neg_hi:[0,0,1]
	v_pk_fma_f32 v[100:101], v[14:15], v[2:3], v[16:17] op_sel:[0,0,1] op_sel_hi:[1,1,0] neg_lo:[0,0,1] neg_hi:[0,0,1]
	v_pk_fma_f32 v[106:107], v[14:15], v[2:3], v[16:17] op_sel:[0,0,1] op_sel_hi:[1,0,0]
	ds_read2st64_b64 v[14:17], v103 offset0:20 offset1:22
	v_pk_fma_f32 v[98:99], v[20:21], v[90:91], v[98:99] op_sel:[0,0,1] op_sel_hi:[1,0,0]
	v_pk_mul_f32 v[20:21], v[18:19], v[90:91] op_sel:[0,1]
	v_mov_b32_e32 v101, v107
	v_pk_fma_f32 v[116:117], v[18:19], v[90:91], v[20:21] op_sel:[0,0,1] op_sel_hi:[1,1,0] neg_lo:[0,0,1] neg_hi:[0,0,1]
	v_pk_fma_f32 v[118:119], v[18:19], v[90:91], v[20:21] op_sel:[0,0,1] op_sel_hi:[1,0,0]
	ds_read2st64_b64 v[18:21], v103 offset0:28 offset1:30
	s_waitcnt lgkmcnt(1)
	v_pk_mul_f32 v[120:121], v[16:17], v[88:89] op_sel_hi:[1,0]
	v_mov_b32_e32 v117, v119
	v_pk_fma_f32 v[126:127], v[16:17], v[4:5], v[120:121] op_sel:[0,0,1] op_sel_hi:[1,1,0] neg_lo:[0,0,1] neg_hi:[0,0,1]
	v_pk_fma_f32 v[120:121], v[16:17], v[4:5], v[120:121] op_sel:[0,0,1] op_sel_hi:[1,0,0]
	v_pk_mul_f32 v[16:17], v[14:15], v[88:89] op_sel_hi:[1,0]
	s_waitcnt lgkmcnt(0)
	v_pk_mul_f32 v[142:143], v[18:19], v[88:89] op_sel_hi:[1,0]
	v_pk_fma_f32 v[128:129], v[14:15], v[4:5], v[16:17] op_sel:[0,0,1] op_sel_hi:[1,1,0] neg_lo:[0,0,1] neg_hi:[0,0,1]
	v_pk_fma_f32 v[138:139], v[14:15], v[4:5], v[16:17] op_sel:[0,0,1] op_sel_hi:[1,0,0]
	ds_read2st64_b64 v[14:17], v103 offset0:8 offset1:10
	v_pk_fma_f32 v[146:147], v[18:19], v[4:5], v[142:143] op_sel:[0,0,1] op_sel_hi:[1,1,0] neg_lo:[0,0,1] neg_hi:[0,0,1]
	v_pk_fma_f32 v[142:143], v[18:19], v[4:5], v[142:143] op_sel:[0,0,1] op_sel_hi:[1,0,0]
	v_pk_mul_f32 v[18:19], v[20:21], v[90:91] op_sel:[0,1]
	v_mov_b32_e32 v129, v139
	v_pk_fma_f32 v[154:155], v[20:21], v[90:91], v[18:19] op_sel:[0,0,1] op_sel_hi:[1,1,0] neg_lo:[0,0,1] neg_hi:[0,0,1]
	v_pk_fma_f32 v[156:157], v[20:21], v[90:91], v[18:19] op_sel:[0,0,1] op_sel_hi:[1,0,0]
	ds_read2st64_b64 v[18:21], v103 offset1:2
	s_waitcnt lgkmcnt(1)
	v_pk_mul_f32 v[158:159], v[16:17], v[2:3] op_sel:[0,1]
	v_mov_b32_e32 v155, v157
	v_pk_fma_f32 v[160:161], v[16:17], v[2:3], v[158:159] op_sel:[0,0,1] op_sel_hi:[1,1,0] neg_lo:[0,0,1] neg_hi:[0,0,1]
	v_pk_fma_f32 v[16:17], v[16:17], v[2:3], v[158:159] op_sel:[0,0,1] op_sel_hi:[1,0,0]
	s_waitcnt lgkmcnt(0)
	v_pk_add_f32 v[128:129], v[18:19], v[128:129] neg_lo:[0,1] neg_hi:[0,1]
	v_mov_b32_e32 v161, v17
	v_pk_add_f32 v[16:17], v[160:161], v[154:155] neg_lo:[0,1] neg_hi:[0,1]
	v_lshlrev_b32_e32 v142, 3, v6
	v_pk_fma_f32 v[154:155], v[160:161], 2.0, v[16:17] op_sel_hi:[1,0,1] neg_lo:[0,0,1] neg_hi:[0,0,1]
	v_pk_add_f32 v[156:157], v[128:129], v[16:17] op_sel:[0,1] op_sel_hi:[1,0] neg_lo:[0,1] neg_hi:[0,1]
	v_pk_add_f32 v[16:17], v[128:129], v[16:17] op_sel:[0,1] op_sel_hi:[1,0]
	v_and_or_b32 v6, v11, s2, v13
	v_mov_b32_e32 v157, v17
	v_pk_fma_f32 v[16:17], v[18:19], 2.0, v[128:129] op_sel_hi:[1,0,1] neg_lo:[0,0,1] neg_hi:[0,0,1]
	s_movk_i32 s2, 0x7f0
	v_pk_add_f32 v[154:155], v[16:17], v[154:155] neg_lo:[0,1] neg_hi:[0,1]
	v_mov_b32_e32 v127, v121
	v_pk_fma_f32 v[158:159], v[16:17], 2.0, v[154:155] op_sel_hi:[1,0,1] neg_lo:[0,0,1] neg_hi:[0,0,1]
	ds_read2st64_b64 v[16:19], v103 offset0:4 offset1:6
	v_and_or_b32 v30, v12, s2, v13
	v_lshlrev_b32_e32 v139, 3, v7
	v_lshlrev_b32_e32 v140, 3, v6
	v_pk_add_f32 v[6:7], v[20:21], v[126:127] neg_lo:[0,1] neg_hi:[0,1]
	v_lshlrev_b32_e32 v138, 3, v30
	v_pk_add_f32 v[30:31], v[32:33], v[38:39] neg_lo:[0,1] neg_hi:[0,1]
	v_pk_add_f32 v[38:39], v[100:101], v[116:117] neg_lo:[0,1] neg_hi:[0,1]
	v_mov_b32_e32 v95, v43
	v_pk_fma_f32 v[20:21], v[20:21], 2.0, v[6:7] op_sel_hi:[1,0,1] neg_lo:[0,0,1] neg_hi:[0,0,1]
	v_pk_fma_f32 v[40:41], v[100:101], 2.0, v[38:39] op_sel_hi:[1,0,1] neg_lo:[0,0,1] neg_hi:[0,0,1]
	v_pk_add_f32 v[42:43], v[6:7], v[38:39] op_sel:[0,1] op_sel_hi:[1,0] neg_lo:[0,1] neg_hi:[0,1]
	v_pk_add_f32 v[38:39], v[6:7], v[38:39] op_sel:[0,1] op_sel_hi:[1,0]
	v_mov_b32_e32 v97, v23
	v_mov_b32_e32 v111, v99
	v_pk_add_f32 v[40:41], v[20:21], v[40:41] neg_lo:[0,1] neg_hi:[0,1]
	v_mov_b32_e32 v43, v39
	v_pk_fma_f32 v[128:129], v[128:129], 2.0, v[156:157] op_sel_hi:[1,0,1] neg_lo:[0,0,1] neg_hi:[0,0,1]
	v_mov_b32_e32 v37, v25
	s_waitcnt lgkmcnt(0)
	v_pk_add_f32 v[24:25], v[16:17], v[96:97] neg_lo:[0,1] neg_hi:[0,1]
	v_pk_add_f32 v[34:35], v[94:95], v[110:111] neg_lo:[0,1] neg_hi:[0,1]
	v_pk_fma_f32 v[20:21], v[20:21], 2.0, v[40:41] op_sel_hi:[1,0,1] neg_lo:[0,0,1] neg_hi:[0,0,1]
	v_pk_fma_f32 v[6:7], v[6:7], 2.0, v[42:43] op_sel_hi:[1,0,1] neg_lo:[0,0,1] neg_hi:[0,0,1]
	s_barrier
	ds_write2_b64 v139, v[158:159], v[128:129] offset1:4
	v_pk_add_f32 v[22:23], v[18:19], v[36:37] neg_lo:[0,1] neg_hi:[0,1]
	v_pk_fma_f32 v[16:17], v[16:17], 2.0, v[24:25] op_sel_hi:[1,0,1] neg_lo:[0,0,1] neg_hi:[0,0,1]
	v_pk_fma_f32 v[36:37], v[94:95], 2.0, v[34:35] op_sel_hi:[1,0,1] neg_lo:[0,0,1] neg_hi:[0,0,1]
	ds_write2_b64 v139, v[154:155], v[156:157] offset0:8 offset1:12
	ds_write2_b64 v142, v[20:21], v[6:7] offset1:4
	ds_write2_b64 v142, v[40:41], v[42:43] offset0:8 offset1:12
	v_pk_add_f32 v[6:7], v[24:25], v[34:35] op_sel:[0,1] op_sel_hi:[1,0] neg_lo:[0,1] neg_hi:[0,1]
	v_pk_add_f32 v[20:21], v[24:25], v[34:35] op_sel:[0,1] op_sel_hi:[1,0]
	v_pk_add_f32 v[36:37], v[16:17], v[36:37] neg_lo:[0,1] neg_hi:[0,1]
	v_mov_b32_e32 v7, v21
	v_pk_fma_f32 v[16:17], v[16:17], 2.0, v[36:37] op_sel_hi:[1,0,1] neg_lo:[0,0,1] neg_hi:[0,0,1]
	v_pk_fma_f32 v[20:21], v[24:25], 2.0, v[6:7] op_sel_hi:[1,0,1] neg_lo:[0,0,1] neg_hi:[0,0,1]
	;; [unrolled: 1-line block ×4, first 2 shown]
	ds_write2_b64 v140, v[16:17], v[20:21] offset1:4
	ds_write2_b64 v140, v[36:37], v[6:7] offset0:8 offset1:12
	v_pk_add_f32 v[6:7], v[22:23], v[30:31] op_sel:[0,1] op_sel_hi:[1,0] neg_lo:[0,1] neg_hi:[0,1]
	v_pk_add_f32 v[16:17], v[22:23], v[30:31] op_sel:[0,1] op_sel_hi:[1,0]
	v_mov_b32_e32 v27, v9
	v_mov_b32_e32 v147, v143
	v_pk_add_f32 v[32:33], v[18:19], v[32:33] neg_lo:[0,1] neg_hi:[0,1]
	v_mov_b32_e32 v7, v17
	v_pk_add_f32 v[8:9], v[14:15], v[146:147] neg_lo:[0,1] neg_hi:[0,1]
	v_pk_add_f32 v[28:29], v[26:27], v[28:29] neg_lo:[0,1] neg_hi:[0,1]
	v_pk_fma_f32 v[18:19], v[18:19], 2.0, v[32:33] op_sel_hi:[1,0,1] neg_lo:[0,0,1] neg_hi:[0,0,1]
	v_pk_fma_f32 v[16:17], v[22:23], 2.0, v[6:7] op_sel_hi:[1,0,1] neg_lo:[0,0,1] neg_hi:[0,0,1]
	;; [unrolled: 1-line block ×3, first 2 shown]
	s_movk_i32 s2, 0x9f0
	v_pk_fma_f32 v[26:27], v[26:27], 2.0, v[28:29] op_sel_hi:[1,0,1] neg_lo:[0,0,1] neg_hi:[0,0,1]
	ds_write2_b64 v138, v[18:19], v[16:17] offset1:4
	ds_write2_b64 v138, v[32:33], v[6:7] offset0:8 offset1:12
	v_pk_add_f32 v[6:7], v[8:9], v[28:29] op_sel:[0,1] op_sel_hi:[1,0] neg_lo:[0,1] neg_hi:[0,1]
	v_pk_add_f32 v[16:17], v[8:9], v[28:29] op_sel:[0,1] op_sel_hi:[1,0]
	v_and_or_b32 v13, v102, s2, v13
	v_pk_add_f32 v[26:27], v[14:15], v[26:27] neg_lo:[0,1] neg_hi:[0,1]
	v_mov_b32_e32 v7, v17
	v_lshlrev_b32_e32 v134, 3, v13
	v_pk_fma_f32 v[14:15], v[14:15], 2.0, v[26:27] op_sel_hi:[1,0,1] neg_lo:[0,0,1] neg_hi:[0,0,1]
	v_pk_fma_f32 v[8:9], v[8:9], 2.0, v[6:7] op_sel_hi:[1,0,1] neg_lo:[0,0,1] neg_hi:[0,0,1]
	v_and_b32_e32 v13, 15, v0
	ds_write2_b64 v134, v[14:15], v[8:9] offset1:4
	ds_write2_b64 v134, v[26:27], v[6:7] offset0:8 offset1:12
	v_mad_u64_u32 v[14:15], s[2:3], v13, 24, s[10:11]
	s_waitcnt lgkmcnt(0)
	s_barrier
	global_load_dwordx4 v[6:9], v[14:15], off offset:96
	global_load_dwordx2 v[94:95], v[14:15], off offset:112
	ds_read2st64_b64 v[14:17], v103 offset0:16 offset1:18
	ds_read2st64_b64 v[18:21], v103 offset0:36 offset1:38
	s_movk_i32 s2, 0x1c0
	v_and_or_b32 v10, v10, s2, v13
	s_movk_i32 s2, 0x3c0
	s_waitcnt vmcnt(1) lgkmcnt(1)
	v_pk_mul_f32 v[22:23], v[16:17], v[6:7] op_sel:[0,1]
	s_nop 0
	v_pk_fma_f32 v[26:27], v[16:17], v[6:7], v[22:23] op_sel:[0,0,1] op_sel_hi:[1,1,0] neg_lo:[0,0,1] neg_hi:[0,0,1]
	v_pk_fma_f32 v[28:29], v[16:17], v[6:7], v[22:23] op_sel:[0,0,1] op_sel_hi:[1,0,0]
	ds_read2st64_b64 v[22:25], v103 offset0:24 offset1:26
	s_waitcnt vmcnt(0) lgkmcnt(1)
	v_pk_mul_f32 v[16:17], v[20:21], v[94:95] op_sel:[0,1]
	v_mov_b32_e32 v92, v9
	v_pk_fma_f32 v[30:31], v[20:21], v[94:95], v[16:17] op_sel:[0,0,1] op_sel_hi:[1,1,0] neg_lo:[0,0,1] neg_hi:[0,0,1]
	v_pk_fma_f32 v[32:33], v[20:21], v[94:95], v[16:17] op_sel:[0,0,1] op_sel_hi:[1,0,0]
	v_pk_mul_f32 v[16:17], v[14:15], v[6:7] op_sel:[0,1]
	v_pk_mul_f32 v[20:21], v[18:19], v[94:95] op_sel:[0,1]
	v_pk_fma_f32 v[34:35], v[14:15], v[6:7], v[16:17] op_sel:[0,0,1] op_sel_hi:[1,1,0] neg_lo:[0,0,1] neg_hi:[0,0,1]
	v_pk_fma_f32 v[36:37], v[14:15], v[6:7], v[16:17] op_sel:[0,0,1] op_sel_hi:[1,0,0]
	s_waitcnt lgkmcnt(0)
	v_pk_mul_f32 v[14:15], v[24:25], v[92:93] op_sel_hi:[1,0]
	v_pk_fma_f32 v[40:41], v[18:19], v[94:95], v[20:21] op_sel:[0,0,1] op_sel_hi:[1,1,0] neg_lo:[0,0,1] neg_hi:[0,0,1]
	v_pk_fma_f32 v[38:39], v[24:25], v[8:9], v[14:15] op_sel:[0,0,1] op_sel_hi:[1,1,0] neg_lo:[0,0,1] neg_hi:[0,0,1]
	v_pk_fma_f32 v[24:25], v[24:25], v[8:9], v[14:15] op_sel:[0,0,1] op_sel_hi:[1,0,0]
	ds_read2st64_b64 v[14:17], v103 offset0:12 offset1:14
	v_pk_fma_f32 v[42:43], v[18:19], v[94:95], v[20:21] op_sel:[0,0,1] op_sel_hi:[1,0,0]
	v_pk_mul_f32 v[18:19], v[22:23], v[92:93] op_sel_hi:[1,0]
	v_mov_b32_e32 v27, v29
	v_pk_fma_f32 v[96:97], v[22:23], v[8:9], v[18:19] op_sel:[0,0,1] op_sel_hi:[1,1,0] neg_lo:[0,0,1] neg_hi:[0,0,1]
	v_pk_fma_f32 v[22:23], v[22:23], v[8:9], v[18:19] op_sel:[0,0,1] op_sel_hi:[1,0,0]
	ds_read2st64_b64 v[18:21], v103 offset0:32 offset1:34
	s_waitcnt lgkmcnt(1)
	v_pk_mul_f32 v[98:99], v[16:17], v[6:7] op_sel:[0,1]
	v_mov_b32_e32 v31, v33
	v_pk_fma_f32 v[100:101], v[16:17], v[6:7], v[98:99] op_sel:[0,0,1] op_sel_hi:[1,1,0] neg_lo:[0,0,1] neg_hi:[0,0,1]
	v_pk_fma_f32 v[98:99], v[16:17], v[6:7], v[98:99] op_sel:[0,0,1] op_sel_hi:[1,0,0]
	v_pk_mul_f32 v[16:17], v[14:15], v[6:7] op_sel:[0,1]
	s_waitcnt lgkmcnt(0)
	v_pk_mul_f32 v[116:117], v[20:21], v[94:95] op_sel:[0,1]
	v_pk_fma_f32 v[106:107], v[14:15], v[6:7], v[16:17] op_sel:[0,0,1] op_sel_hi:[1,1,0] neg_lo:[0,0,1] neg_hi:[0,0,1]
	v_pk_fma_f32 v[110:111], v[14:15], v[6:7], v[16:17] op_sel:[0,0,1] op_sel_hi:[1,0,0]
	ds_read2st64_b64 v[14:17], v103 offset0:20 offset1:22
	v_pk_fma_f32 v[118:119], v[20:21], v[94:95], v[116:117] op_sel:[0,0,1] op_sel_hi:[1,1,0] neg_lo:[0,0,1] neg_hi:[0,0,1]
	v_pk_fma_f32 v[116:117], v[20:21], v[94:95], v[116:117] op_sel:[0,0,1] op_sel_hi:[1,0,0]
	v_pk_mul_f32 v[20:21], v[18:19], v[94:95] op_sel:[0,1]
	v_mov_b32_e32 v107, v111
	v_pk_fma_f32 v[120:121], v[18:19], v[94:95], v[20:21] op_sel:[0,0,1] op_sel_hi:[1,1,0] neg_lo:[0,0,1] neg_hi:[0,0,1]
	v_pk_fma_f32 v[126:127], v[18:19], v[94:95], v[20:21] op_sel:[0,0,1] op_sel_hi:[1,0,0]
	ds_read2st64_b64 v[18:21], v103 offset0:28 offset1:30
	s_waitcnt lgkmcnt(1)
	v_pk_mul_f32 v[128:129], v[16:17], v[92:93] op_sel_hi:[1,0]
	v_mov_b32_e32 v121, v127
	v_pk_fma_f32 v[154:155], v[16:17], v[8:9], v[128:129] op_sel:[0,0,1] op_sel_hi:[1,1,0] neg_lo:[0,0,1] neg_hi:[0,0,1]
	v_pk_fma_f32 v[128:129], v[16:17], v[8:9], v[128:129] op_sel:[0,0,1] op_sel_hi:[1,0,0]
	v_pk_mul_f32 v[16:17], v[14:15], v[92:93] op_sel_hi:[1,0]
	s_waitcnt lgkmcnt(0)
	v_pk_mul_f32 v[158:159], v[18:19], v[92:93] op_sel_hi:[1,0]
	v_pk_fma_f32 v[146:147], v[14:15], v[8:9], v[16:17] op_sel:[0,0,1] op_sel_hi:[1,1,0] neg_lo:[0,0,1] neg_hi:[0,0,1]
	v_pk_fma_f32 v[156:157], v[14:15], v[8:9], v[16:17] op_sel:[0,0,1] op_sel_hi:[1,0,0]
	ds_read2st64_b64 v[14:17], v103 offset0:8 offset1:10
	v_pk_fma_f32 v[160:161], v[18:19], v[8:9], v[158:159] op_sel:[0,0,1] op_sel_hi:[1,1,0] neg_lo:[0,0,1] neg_hi:[0,0,1]
	v_pk_fma_f32 v[158:159], v[18:19], v[8:9], v[158:159] op_sel:[0,0,1] op_sel_hi:[1,0,0]
	v_pk_mul_f32 v[18:19], v[20:21], v[94:95] op_sel:[0,1]
	v_mov_b32_e32 v147, v157
	v_pk_fma_f32 v[162:163], v[20:21], v[94:95], v[18:19] op_sel:[0,0,1] op_sel_hi:[1,1,0] neg_lo:[0,0,1] neg_hi:[0,0,1]
	v_pk_fma_f32 v[164:165], v[20:21], v[94:95], v[18:19] op_sel:[0,0,1] op_sel_hi:[1,0,0]
	ds_read2st64_b64 v[18:21], v103 offset1:2
	s_waitcnt lgkmcnt(1)
	v_pk_mul_f32 v[166:167], v[16:17], v[6:7] op_sel:[0,1]
	v_mov_b32_e32 v163, v165
	v_pk_fma_f32 v[168:169], v[16:17], v[6:7], v[166:167] op_sel:[0,0,1] op_sel_hi:[1,1,0] neg_lo:[0,0,1] neg_hi:[0,0,1]
	v_pk_fma_f32 v[16:17], v[16:17], v[6:7], v[166:167] op_sel:[0,0,1] op_sel_hi:[1,0,0]
	s_waitcnt lgkmcnt(0)
	v_pk_add_f32 v[156:157], v[18:19], v[146:147] neg_lo:[0,1] neg_hi:[0,1]
	v_mov_b32_e32 v169, v17
	v_pk_add_f32 v[16:17], v[168:169], v[162:163] neg_lo:[0,1] neg_hi:[0,1]
	v_lshlrev_b32_e32 v146, 3, v10
	v_pk_fma_f32 v[162:163], v[168:169], 2.0, v[16:17] op_sel_hi:[1,0,1] neg_lo:[0,0,1] neg_hi:[0,0,1]
	v_pk_add_f32 v[164:165], v[156:157], v[16:17] op_sel:[0,1] op_sel_hi:[1,0] neg_lo:[0,1] neg_hi:[0,1]
	v_pk_add_f32 v[16:17], v[156:157], v[16:17] op_sel:[0,1] op_sel_hi:[1,0]
	v_and_or_b32 v10, v45, s2, v13
	v_mov_b32_e32 v165, v17
	v_pk_fma_f32 v[16:17], v[18:19], 2.0, v[156:157] op_sel_hi:[1,0,1] neg_lo:[0,0,1] neg_hi:[0,0,1]
	s_movk_i32 s2, 0x5c0
	v_pk_add_f32 v[162:163], v[16:17], v[162:163] neg_lo:[0,1] neg_hi:[0,1]
	v_lshlrev_b32_e32 v147, 3, v10
	v_pk_fma_f32 v[166:167], v[16:17], 2.0, v[162:163] op_sel_hi:[1,0,1] neg_lo:[0,0,1] neg_hi:[0,0,1]
	ds_read2st64_b64 v[16:19], v103 offset0:4 offset1:6
	v_and_or_b32 v10, v11, s2, v13
	s_movk_i32 s2, 0x7c0
	v_lshlrev_b32_e32 v148, 3, v10
	v_and_or_b32 v10, v12, s2, v13
	s_movk_i32 s2, 0x9c0
	v_lshlrev_b32_e32 v144, 3, v10
	v_and_or_b32 v10, v102, s2, v13
	v_mov_b32_e32 v155, v129
	v_mov_b32_e32 v35, v37
	;; [unrolled: 1-line block ×5, first 2 shown]
	v_lshlrev_b32_e32 v143, 3, v10
	v_pk_add_f32 v[10:11], v[26:27], v[30:31] neg_lo:[0,1] neg_hi:[0,1]
	v_mov_b32_e32 v119, v117
	v_pk_add_f32 v[110:111], v[20:21], v[154:155] neg_lo:[0,1] neg_hi:[0,1]
	v_pk_add_f32 v[120:121], v[106:107], v[120:121] neg_lo:[0,1] neg_hi:[0,1]
	v_pk_fma_f32 v[12:13], v[26:27], 2.0, v[10:11] op_sel_hi:[1,0,1] neg_lo:[0,0,1] neg_hi:[0,0,1]
	v_pk_add_f32 v[26:27], v[34:35], v[40:41] neg_lo:[0,1] neg_hi:[0,1]
	s_waitcnt lgkmcnt(0)
	v_pk_add_f32 v[30:31], v[16:17], v[96:97] neg_lo:[0,1] neg_hi:[0,1]
	v_pk_add_f32 v[32:33], v[100:101], v[118:119] neg_lo:[0,1] neg_hi:[0,1]
	v_pk_fma_f32 v[20:21], v[20:21], 2.0, v[110:111] op_sel_hi:[1,0,1] neg_lo:[0,0,1] neg_hi:[0,0,1]
	v_pk_fma_f32 v[106:107], v[106:107], 2.0, v[120:121] op_sel_hi:[1,0,1] neg_lo:[0,0,1] neg_hi:[0,0,1]
	v_pk_add_f32 v[126:127], v[110:111], v[120:121] op_sel:[0,1] op_sel_hi:[1,0] neg_lo:[0,1] neg_hi:[0,1]
	v_pk_add_f32 v[120:121], v[110:111], v[120:121] op_sel:[0,1] op_sel_hi:[1,0]
	v_pk_fma_f32 v[28:29], v[34:35], 2.0, v[26:27] op_sel_hi:[1,0,1] neg_lo:[0,0,1] neg_hi:[0,0,1]
	v_pk_fma_f32 v[16:17], v[16:17], 2.0, v[30:31] op_sel_hi:[1,0,1] neg_lo:[0,0,1] neg_hi:[0,0,1]
	;; [unrolled: 1-line block ×3, first 2 shown]
	v_pk_add_f32 v[36:37], v[30:31], v[32:33] op_sel:[0,1] op_sel_hi:[1,0] neg_lo:[0,1] neg_hi:[0,1]
	v_pk_add_f32 v[32:33], v[30:31], v[32:33] op_sel:[0,1] op_sel_hi:[1,0]
	v_mov_b32_e32 v127, v121
	v_pk_add_f32 v[106:107], v[20:21], v[106:107] neg_lo:[0,1] neg_hi:[0,1]
	v_mov_b32_e32 v39, v25
	v_pk_add_f32 v[34:35], v[16:17], v[34:35] neg_lo:[0,1] neg_hi:[0,1]
	v_mov_b32_e32 v37, v33
	v_pk_fma_f32 v[156:157], v[156:157], 2.0, v[164:165] op_sel_hi:[1,0,1] neg_lo:[0,0,1] neg_hi:[0,0,1]
	v_pk_fma_f32 v[20:21], v[20:21], 2.0, v[106:107] op_sel_hi:[1,0,1] neg_lo:[0,0,1] neg_hi:[0,0,1]
	;; [unrolled: 1-line block ×3, first 2 shown]
	v_pk_add_f32 v[24:25], v[18:19], v[38:39] neg_lo:[0,1] neg_hi:[0,1]
	v_pk_fma_f32 v[16:17], v[16:17], 2.0, v[34:35] op_sel_hi:[1,0,1] neg_lo:[0,0,1] neg_hi:[0,0,1]
	v_pk_fma_f32 v[30:31], v[30:31], 2.0, v[36:37] op_sel_hi:[1,0,1] neg_lo:[0,0,1] neg_hi:[0,0,1]
	s_barrier
	ds_write2_b64 v146, v[166:167], v[156:157] offset1:16
	ds_write2_b64 v146, v[162:163], v[164:165] offset0:32 offset1:48
	ds_write2_b64 v147, v[20:21], v[110:111] offset1:16
	ds_write2_b64 v147, v[106:107], v[126:127] offset0:32 offset1:48
	v_pk_fma_f32 v[18:19], v[18:19], 2.0, v[24:25] op_sel_hi:[1,0,1] neg_lo:[0,0,1] neg_hi:[0,0,1]
	ds_write2_b64 v148, v[16:17], v[30:31] offset1:16
	ds_write2_b64 v148, v[34:35], v[36:37] offset0:32 offset1:48
	v_pk_add_f32 v[16:17], v[24:25], v[26:27] op_sel:[0,1] op_sel_hi:[1,0] neg_lo:[0,1] neg_hi:[0,1]
	v_pk_add_f32 v[26:27], v[24:25], v[26:27] op_sel:[0,1] op_sel_hi:[1,0]
	v_mov_b32_e32 v161, v159
	v_pk_add_f32 v[28:29], v[18:19], v[28:29] neg_lo:[0,1] neg_hi:[0,1]
	v_mov_b32_e32 v17, v27
	v_pk_add_f32 v[20:21], v[14:15], v[160:161] neg_lo:[0,1] neg_hi:[0,1]
	v_pk_fma_f32 v[18:19], v[18:19], 2.0, v[28:29] op_sel_hi:[1,0,1] neg_lo:[0,0,1] neg_hi:[0,0,1]
	v_pk_fma_f32 v[24:25], v[24:25], 2.0, v[16:17] op_sel_hi:[1,0,1] neg_lo:[0,0,1] neg_hi:[0,0,1]
	;; [unrolled: 1-line block ×3, first 2 shown]
	ds_write2_b64 v144, v[18:19], v[24:25] offset1:16
	ds_write2_b64 v144, v[28:29], v[16:17] offset0:32 offset1:48
	v_pk_add_f32 v[16:17], v[20:21], v[10:11] op_sel:[0,1] op_sel_hi:[1,0] neg_lo:[0,1] neg_hi:[0,1]
	v_pk_add_f32 v[10:11], v[20:21], v[10:11] op_sel:[0,1] op_sel_hi:[1,0]
	v_mov_b64_e32 v[22:23], s[10:11]
	v_pk_add_f32 v[12:13], v[14:15], v[12:13] neg_lo:[0,1] neg_hi:[0,1]
	v_mov_b32_e32 v17, v11
	v_and_b32_e32 v45, 63, v0
	s_movk_i32 s2, 0x48
	v_pk_fma_f32 v[14:15], v[14:15], 2.0, v[12:13] op_sel_hi:[1,0,1] neg_lo:[0,0,1] neg_hi:[0,0,1]
	v_pk_fma_f32 v[10:11], v[20:21], 2.0, v[16:17] op_sel_hi:[1,0,1] neg_lo:[0,0,1] neg_hi:[0,0,1]
	v_mad_u64_u32 v[26:27], s[2:3], v45, s2, v[22:23]
	ds_write2_b64 v143, v[14:15], v[10:11] offset1:16
	ds_write2_b64 v143, v[12:13], v[16:17] offset0:32 offset1:48
	s_waitcnt lgkmcnt(0)
	s_barrier
	global_load_dwordx4 v[10:13], v[26:27], off offset:480
	global_load_dwordx4 v[18:21], v[26:27], off offset:496
	;; [unrolled: 1-line block ×4, first 2 shown]
	global_load_dwordx2 v[96:97], v[26:27], off offset:544
	ds_read2st64_b64 v[30:33], v103 offset0:4 offset1:6
	ds_read2st64_b64 v[34:37], v103 offset0:8 offset1:10
	;; [unrolled: 1-line block ×4, first 2 shown]
	s_mov_b32 s2, 0x3f167918
	s_mov_b32 s21, s2
	s_waitcnt vmcnt(4) lgkmcnt(3)
	v_pk_mul_f32 v[28:29], v[32:33], v[10:11] op_sel:[0,1]
	v_mov_b32_e32 v112, v13
	v_pk_fma_f32 v[26:27], v[32:33], v[10:11], v[28:29] op_sel:[0,0,1] op_sel_hi:[1,1,0] neg_lo:[0,0,1] neg_hi:[0,0,1]
	v_pk_fma_f32 v[106:107], v[32:33], v[10:11], v[28:29] op_sel:[0,0,1] op_sel_hi:[1,0,0]
	s_waitcnt lgkmcnt(2)
	v_pk_mul_f32 v[32:33], v[36:37], v[112:113] op_sel_hi:[1,0]
	s_waitcnt vmcnt(3)
	v_mov_b32_e32 v108, v21
	v_pk_fma_f32 v[28:29], v[36:37], v[12:13], v[32:33] op_sel:[0,0,1] op_sel_hi:[1,1,0] neg_lo:[0,0,1] neg_hi:[0,0,1]
	v_pk_fma_f32 v[110:111], v[36:37], v[12:13], v[32:33] op_sel:[0,0,1] op_sel_hi:[1,0,0]
	ds_read2st64_b64 v[36:39], v103 offset0:12 offset1:14
	v_pk_mul_f32 v[32:33], v[30:31], v[10:11] op_sel:[0,1]
	s_waitcnt vmcnt(2)
	v_mov_b32_e32 v104, v17
	v_pk_fma_f32 v[120:121], v[30:31], v[10:11], v[32:33] op_sel:[0,0,1] op_sel_hi:[1,1,0] neg_lo:[0,0,1] neg_hi:[0,0,1]
	v_pk_fma_f32 v[126:127], v[30:31], v[10:11], v[32:33] op_sel:[0,0,1] op_sel_hi:[1,0,0]
	v_pk_mul_f32 v[30:31], v[34:35], v[112:113] op_sel_hi:[1,0]
	s_waitcnt lgkmcnt(0)
	v_pk_mul_f32 v[32:33], v[38:39], v[18:19] op_sel:[0,1]
	v_pk_fma_f32 v[128:129], v[34:35], v[12:13], v[30:31] op_sel:[0,0,1] op_sel_hi:[1,1,0] neg_lo:[0,0,1] neg_hi:[0,0,1]
	v_pk_fma_f32 v[154:155], v[34:35], v[12:13], v[30:31] op_sel:[0,0,1] op_sel_hi:[1,0,0]
	v_pk_fma_f32 v[30:31], v[38:39], v[18:19], v[32:33] op_sel:[0,0,1] op_sel_hi:[1,1,0] neg_lo:[0,0,1] neg_hi:[0,0,1]
	v_pk_fma_f32 v[156:157], v[38:39], v[18:19], v[32:33] op_sel:[0,0,1] op_sel_hi:[1,0,0]
	ds_read2st64_b64 v[38:41], v103 offset0:16 offset1:18
	v_pk_mul_f32 v[32:33], v[36:37], v[18:19] op_sel:[0,1]
	s_waitcnt vmcnt(1)
	v_mov_b32_e32 v102, v25
	v_pk_fma_f32 v[158:159], v[36:37], v[18:19], v[32:33] op_sel:[0,0,1] op_sel_hi:[1,1,0] neg_lo:[0,0,1] neg_hi:[0,0,1]
	v_pk_fma_f32 v[160:161], v[36:37], v[18:19], v[32:33] op_sel:[0,0,1] op_sel_hi:[1,0,0]
	s_waitcnt lgkmcnt(0)
	v_pk_mul_f32 v[34:35], v[40:41], v[108:109] op_sel_hi:[1,0]
	v_pk_mul_f32 v[36:37], v[100:101], v[14:15] op_sel:[0,1]
	v_pk_fma_f32 v[32:33], v[40:41], v[20:21], v[34:35] op_sel:[0,0,1] op_sel_hi:[1,1,0] neg_lo:[0,0,1] neg_hi:[0,0,1]
	v_pk_fma_f32 v[162:163], v[40:41], v[20:21], v[34:35] op_sel:[0,0,1] op_sel_hi:[1,0,0]
	v_pk_mul_f32 v[34:35], v[38:39], v[108:109] op_sel_hi:[1,0]
	v_pk_fma_f32 v[168:169], v[100:101], v[14:15], v[36:37] op_sel:[0,0,1] op_sel_hi:[1,0,0]
	v_pk_fma_f32 v[164:165], v[38:39], v[20:21], v[34:35] op_sel:[0,0,1] op_sel_hi:[1,1,0] neg_lo:[0,0,1] neg_hi:[0,0,1]
	v_pk_fma_f32 v[166:167], v[38:39], v[20:21], v[34:35] op_sel:[0,0,1] op_sel_hi:[1,0,0]
	ds_read2st64_b64 v[38:41], v103 offset0:24 offset1:26
	v_pk_fma_f32 v[34:35], v[100:101], v[14:15], v[36:37] op_sel:[0,0,1] op_sel_hi:[1,1,0] neg_lo:[0,0,1] neg_hi:[0,0,1]
	v_pk_mul_f32 v[36:37], v[98:99], v[14:15] op_sel:[0,1]
	v_mov_b32_e32 v129, v155
	v_pk_fma_f32 v[170:171], v[98:99], v[14:15], v[36:37] op_sel:[0,0,1] op_sel_hi:[1,1,0] neg_lo:[0,0,1] neg_hi:[0,0,1]
	v_pk_fma_f32 v[172:173], v[98:99], v[14:15], v[36:37] op_sel:[0,0,1] op_sel_hi:[1,0,0]
	ds_read2st64_b64 v[98:101], v103 offset0:28 offset1:30
	s_waitcnt lgkmcnt(1)
	v_pk_mul_f32 v[42:43], v[40:41], v[104:105] op_sel_hi:[1,0]
	v_mov_b32_e32 v165, v167
	v_pk_fma_f32 v[36:37], v[40:41], v[16:17], v[42:43] op_sel:[0,0,1] op_sel_hi:[1,1,0] neg_lo:[0,0,1] neg_hi:[0,0,1]
	v_pk_fma_f32 v[174:175], v[40:41], v[16:17], v[42:43] op_sel:[0,0,1] op_sel_hi:[1,0,0]
	v_pk_mul_f32 v[40:41], v[38:39], v[104:105] op_sel_hi:[1,0]
	v_pk_mul_f32 v[42:43], v[118:119], v[102:103] op_sel_hi:[1,0]
	v_pk_fma_f32 v[176:177], v[38:39], v[16:17], v[40:41] op_sel:[0,0,1] op_sel_hi:[1,1,0] neg_lo:[0,0,1] neg_hi:[0,0,1]
	v_pk_fma_f32 v[178:179], v[38:39], v[16:17], v[40:41] op_sel:[0,0,1] op_sel_hi:[1,0,0]
	s_waitcnt lgkmcnt(0)
	v_pk_mul_f32 v[40:41], v[100:101], v[22:23] op_sel:[0,1]
	v_pk_fma_f32 v[186:187], v[118:119], v[24:25], v[42:43] op_sel:[0,0,1] op_sel_hi:[1,0,0]
	v_pk_fma_f32 v[38:39], v[100:101], v[22:23], v[40:41] op_sel:[0,0,1] op_sel_hi:[1,1,0] neg_lo:[0,0,1] neg_hi:[0,0,1]
	v_pk_fma_f32 v[180:181], v[100:101], v[22:23], v[40:41] op_sel:[0,0,1] op_sel_hi:[1,0,0]
	v_pk_mul_f32 v[40:41], v[98:99], v[22:23] op_sel:[0,1]
	v_mov_b32_e32 v177, v179
	v_pk_fma_f32 v[182:183], v[98:99], v[22:23], v[40:41] op_sel:[0,0,1] op_sel_hi:[1,1,0] neg_lo:[0,0,1] neg_hi:[0,0,1]
	v_pk_fma_f32 v[184:185], v[98:99], v[22:23], v[40:41] op_sel:[0,0,1] op_sel_hi:[1,0,0]
	ds_read2st64_b64 v[98:101], v103 offset0:36 offset1:38
	v_pk_fma_f32 v[40:41], v[118:119], v[24:25], v[42:43] op_sel:[0,0,1] op_sel_hi:[1,1,0] neg_lo:[0,0,1] neg_hi:[0,0,1]
	v_pk_mul_f32 v[42:43], v[116:117], v[102:103] op_sel_hi:[1,0]
	v_mov_b32_e32 v121, v127
	v_pk_fma_f32 v[188:189], v[116:117], v[24:25], v[42:43] op_sel:[0,0,1] op_sel_hi:[1,1,0] neg_lo:[0,0,1] neg_hi:[0,0,1]
	s_waitcnt vmcnt(0) lgkmcnt(0)
	v_pk_mul_f32 v[118:119], v[100:101], v[96:97] op_sel:[0,1]
	v_pk_fma_f32 v[116:117], v[116:117], v[24:25], v[42:43] op_sel:[0,0,1] op_sel_hi:[1,0,0]
	v_pk_fma_f32 v[42:43], v[100:101], v[96:97], v[118:119] op_sel:[0,0,1] op_sel_hi:[1,1,0] neg_lo:[0,0,1] neg_hi:[0,0,1]
	v_pk_fma_f32 v[190:191], v[100:101], v[96:97], v[118:119] op_sel:[0,0,1] op_sel_hi:[1,0,0]
	v_pk_mul_f32 v[100:101], v[98:99], v[96:97] op_sel:[0,1]
	v_mov_b32_e32 v189, v117
	v_pk_fma_f32 v[192:193], v[98:99], v[96:97], v[100:101] op_sel:[0,0,1] op_sel_hi:[1,1,0] neg_lo:[0,0,1] neg_hi:[0,0,1]
	v_pk_fma_f32 v[98:99], v[98:99], v[96:97], v[100:101] op_sel:[0,0,1] op_sel_hi:[1,0,0]
	v_pk_add_f32 v[116:117], v[128:129], v[164:165] neg_lo:[0,1] neg_hi:[0,1]
	v_mov_b32_e32 v193, v99
	ds_read2st64_b64 v[98:101], v103 offset1:2
	v_pk_add_f32 v[118:119], v[188:189], v[176:177] neg_lo:[0,1] neg_hi:[0,1]
	v_pk_add_f32 v[126:127], v[128:129], v[188:189] neg_lo:[0,1] neg_hi:[0,1]
	v_pk_add_f32 v[116:117], v[116:117], v[118:119]
	v_pk_add_f32 v[118:119], v[164:165], v[176:177]
	v_pk_mul_f32 v[154:155], v[126:127], s[8:9] op_sel_hi:[1,0]
	s_waitcnt lgkmcnt(0)
	v_pk_fma_f32 v[118:119], v[118:119], 0.5, v[98:99] op_sel_hi:[1,0,1] neg_lo:[1,0,0] neg_hi:[1,0,0]
	v_mov_b32_e32 v159, v161
	v_pk_add_f32 v[160:161], v[118:119], v[154:155] op_sel:[0,1] op_sel_hi:[1,0]
	v_pk_add_f32 v[118:119], v[118:119], v[154:155] op_sel:[0,1] op_sel_hi:[1,0] neg_lo:[0,1] neg_hi:[0,1]
	v_pk_add_f32 v[154:155], v[164:165], v[176:177] neg_lo:[0,1] neg_hi:[0,1]
	v_mov_b32_e32 v171, v173
	v_mov_b32_e32 v183, v185
	v_pk_mul_f32 v[166:167], v[154:155], s[2:3] op_sel_hi:[1,0]
	v_pk_add_f32 v[178:179], v[158:159], v[192:193] neg_lo:[0,1] neg_hi:[0,1]
	v_pk_add_f32 v[172:173], v[118:119], v[166:167] op_sel:[0,1] op_sel_hi:[1,0] neg_lo:[0,1] neg_hi:[0,1]
	v_pk_add_f32 v[160:161], v[160:161], v[166:167] op_sel:[0,1] op_sel_hi:[1,0]
	v_pk_add_f32 v[118:119], v[158:159], v[170:171] neg_lo:[0,1] neg_hi:[0,1]
	v_pk_add_f32 v[166:167], v[192:193], v[182:183] neg_lo:[0,1] neg_hi:[0,1]
	v_pk_mul_f32 v[184:185], v[178:179], s[8:9] op_sel_hi:[1,0]
	v_pk_add_f32 v[166:167], v[118:119], v[166:167]
	v_pk_add_f32 v[118:119], v[170:171], v[182:183]
	;; [unrolled: 1-line block ×3, first 2 shown]
	v_pk_fma_f32 v[118:119], v[118:119], 0.5, v[120:121] op_sel_hi:[1,0,1] neg_lo:[1,0,0] neg_hi:[1,0,0]
	v_pk_mul_f32 v[126:127], v[126:127], s[2:3] op_sel_hi:[1,0]
	v_pk_add_f32 v[194:195], v[118:119], v[184:185] op_sel:[0,1] op_sel_hi:[1,0]
	v_pk_add_f32 v[118:119], v[118:119], v[184:185] op_sel:[0,1] op_sel_hi:[1,0] neg_lo:[0,1] neg_hi:[0,1]
	v_pk_add_f32 v[184:185], v[170:171], v[182:183] neg_lo:[0,1] neg_hi:[0,1]
	v_pk_add_f32 v[202:203], v[202:203], v[170:171]
	v_pk_mul_f32 v[196:197], v[184:185], s[2:3] op_sel_hi:[1,0]
	v_lshrrev_b32_e32 v13, 6, v0
	v_pk_add_f32 v[198:199], v[118:119], v[196:197] op_sel:[0,1] op_sel_hi:[1,0] neg_lo:[0,1] neg_hi:[0,1]
	v_pk_add_f32 v[194:195], v[194:195], v[196:197] op_sel:[0,1] op_sel_hi:[1,0]
	v_mov_b32_e32 v119, v199
	v_mov_b32_e32 v118, v194
	v_pk_fma_f32 v[118:119], v[166:167], s[12:13], v[118:119] op_sel_hi:[1,0,1]
	v_mul_u32_u24_e32 v13, 0x280, v13
	v_pk_mul_f32 v[196:197], v[118:119], s[2:3] op_sel_hi:[1,0]
	v_or_b32_e32 v13, v13, v45
	v_pk_fma_f32 v[200:201], v[118:119], s[14:15], v[196:197] op_sel:[0,0,1] op_sel_hi:[1,0,0]
	v_pk_fma_f32 v[118:119], v[118:119], s[14:15], v[196:197] op_sel:[0,0,1] op_sel_hi:[1,0,0] neg_lo:[0,0,1] neg_hi:[0,0,1]
	v_pk_add_f32 v[196:197], v[98:99], v[128:129]
	v_mov_b32_e32 v201, v119
	v_pk_add_f32 v[196:197], v[196:197], v[164:165]
	v_pk_add_f32 v[164:165], v[164:165], v[128:129] neg_lo:[0,1] neg_hi:[0,1]
	v_pk_add_f32 v[196:197], v[196:197], v[176:177]
	v_pk_add_f32 v[128:129], v[128:129], v[188:189]
	v_pk_add_f32 v[176:177], v[176:177], v[188:189] neg_lo:[0,1] neg_hi:[0,1]
	v_pk_fma_f32 v[98:99], v[128:129], 0.5, v[98:99] op_sel_hi:[1,0,1] neg_lo:[1,0,0] neg_hi:[1,0,0]
	v_pk_add_f32 v[164:165], v[164:165], v[176:177]
	v_pk_add_f32 v[176:177], v[158:159], v[192:193]
	v_pk_mul_f32 v[128:129], v[154:155], s[8:9] op_sel_hi:[1,0]
	v_pk_fma_f32 v[120:121], v[176:177], 0.5, v[120:121] op_sel_hi:[1,0,1] neg_lo:[1,0,0] neg_hi:[1,0,0]
	v_pk_add_f32 v[154:155], v[98:99], v[128:129] op_sel:[0,1] op_sel_hi:[1,0] neg_lo:[0,1] neg_hi:[0,1]
	v_pk_add_f32 v[98:99], v[98:99], v[128:129] op_sel:[0,1] op_sel_hi:[1,0]
	v_pk_mul_f32 v[128:129], v[184:185], s[8:9] op_sel_hi:[1,0]
	v_pk_add_f32 v[98:99], v[98:99], v[126:127] op_sel:[0,1] op_sel_hi:[1,0] neg_lo:[0,1] neg_hi:[0,1]
	v_pk_add_f32 v[126:127], v[154:155], v[126:127] op_sel:[0,1] op_sel_hi:[1,0]
	v_pk_add_f32 v[154:155], v[120:121], v[128:129] op_sel:[0,1] op_sel_hi:[1,0] neg_lo:[0,1] neg_hi:[0,1]
	v_pk_add_f32 v[120:121], v[120:121], v[128:129] op_sel:[0,1] op_sel_hi:[1,0]
	v_pk_mul_f32 v[128:129], v[178:179], s[2:3] op_sel_hi:[1,0]
	v_pk_add_f32 v[158:159], v[170:171], v[158:159] neg_lo:[0,1] neg_hi:[0,1]
	v_pk_add_f32 v[170:171], v[182:183], v[192:193] neg_lo:[0,1] neg_hi:[0,1]
	v_pk_add_f32 v[120:121], v[120:121], v[128:129] op_sel:[0,1] op_sel_hi:[1,0] neg_lo:[0,1] neg_hi:[0,1]
	v_pk_add_f32 v[128:129], v[154:155], v[128:129] op_sel:[0,1] op_sel_hi:[1,0]
	v_pk_add_f32 v[158:159], v[158:159], v[170:171]
	v_mov_b32_e32 v154, v128
	v_mov_b32_e32 v155, v121
	v_pk_fma_f32 v[154:155], v[158:159], s[12:13], v[154:155] op_sel_hi:[1,0,1]
	v_mov_b32_e32 v121, v129
	v_pk_mul_f32 v[170:171], v[154:155], s[8:9] op_sel_hi:[1,0]
	v_pk_fma_f32 v[120:121], v[158:159], s[12:13], v[120:121] op_sel_hi:[1,0,1]
	v_pk_fma_f32 v[176:177], v[154:155], s[12:13], v[170:171] op_sel:[0,0,1] op_sel_hi:[1,0,0]
	v_pk_fma_f32 v[154:155], v[154:155], s[12:13], v[170:171] op_sel:[0,0,1] op_sel_hi:[1,0,0] neg_lo:[0,0,1] neg_hi:[0,0,1]
	v_pk_mul_f32 v[128:129], v[120:121], s[12:13] op_sel_hi:[1,0]
	v_mov_b32_e32 v177, v155
	v_mov_b32_e32 v154, v126
	;; [unrolled: 1-line block ×4, first 2 shown]
	v_pk_fma_f32 v[126:127], v[164:165], s[12:13], v[154:155] op_sel_hi:[1,0,1]
	v_pk_fma_f32 v[98:99], v[164:165], s[12:13], v[98:99] op_sel_hi:[1,0,1]
	v_pk_fma_f32 v[120:121], v[120:121], s[18:19], v[128:129] op_sel:[0,0,1] op_sel_hi:[1,1,0] neg_lo:[0,0,1] neg_hi:[0,0,1]
	v_lshlrev_b32_e32 v119, 3, v13
	v_pk_add_f32 v[128:129], v[126:127], v[176:177]
	v_pk_add_f32 v[154:155], v[98:99], v[120:121] op_sel:[0,1] op_sel_hi:[1,0]
	v_mov_b32_e32 v199, v195
	s_barrier
	ds_write2st64_b64 v119, v[128:129], v[154:155] offset0:2 offset1:3
	v_pk_fma_f32 v[128:129], v[166:167], s[12:13], v[198:199] op_sel_hi:[1,0,1]
	v_mov_b32_e32 v204, v160
	v_mov_b32_e32 v205, v173
	;; [unrolled: 1-line block ×3, first 2 shown]
	v_pk_mul_f32 v[154:155], v[128:129], s[14:15] op_sel_hi:[1,0]
	v_pk_fma_f32 v[204:205], v[116:117], s[12:13], v[204:205] op_sel_hi:[1,0,1]
	v_pk_fma_f32 v[116:117], v[116:117], s[12:13], v[172:173] op_sel_hi:[1,0,1]
	v_pk_fma_f32 v[128:129], v[128:129], s[20:21], v[154:155] op_sel:[0,0,1] op_sel_hi:[1,1,0] neg_lo:[0,0,1] neg_hi:[0,0,1]
	v_pk_add_f32 v[98:99], v[98:99], v[120:121] op_sel:[0,1] op_sel_hi:[1,0] neg_lo:[0,1] neg_hi:[0,1]
	v_pk_add_f32 v[158:159], v[116:117], v[128:129] op_sel:[0,1] op_sel_hi:[1,0]
	v_pk_add_f32 v[116:117], v[116:117], v[128:129] op_sel:[0,1] op_sel_hi:[1,0] neg_lo:[0,1] neg_hi:[0,1]
	v_mov_b32_e32 v29, v111
	v_mov_b32_e32 v33, v163
	;; [unrolled: 1-line block ×4, first 2 shown]
	v_pk_add_f32 v[202:203], v[202:203], v[182:183]
	ds_write2st64_b64 v119, v[98:99], v[116:117] offset0:8 offset1:9
	v_mov_b32_e32 v27, v107
	v_pk_add_f32 v[98:99], v[28:29], v[32:33] neg_lo:[0,1] neg_hi:[0,1]
	v_pk_add_f32 v[106:107], v[40:41], v[36:37] neg_lo:[0,1] neg_hi:[0,1]
	v_pk_add_f32 v[196:197], v[196:197], v[188:189]
	v_pk_add_f32 v[202:203], v[202:203], v[192:193]
	v_pk_add_f32 v[98:99], v[98:99], v[106:107]
	v_pk_add_f32 v[106:107], v[32:33], v[36:37]
	v_pk_add_f32 v[110:111], v[28:29], v[40:41] neg_lo:[0,1] neg_hi:[0,1]
	v_pk_add_f32 v[154:155], v[196:197], v[202:203] neg_lo:[0,1] neg_hi:[0,1]
	v_pk_fma_f32 v[106:107], v[106:107], 0.5, v[100:101] op_sel_hi:[1,0,1] neg_lo:[1,0,0] neg_hi:[1,0,0]
	v_pk_mul_f32 v[116:117], v[110:111], s[8:9] op_sel_hi:[1,0]
	ds_write2st64_b64 v119, v[158:159], v[154:155] offset0:4 offset1:5
	v_pk_add_f32 v[154:155], v[204:205], v[200:201] neg_lo:[0,1] neg_hi:[0,1]
	v_pk_add_f32 v[126:127], v[126:127], v[176:177] neg_lo:[0,1] neg_hi:[0,1]
	v_pk_add_f32 v[120:121], v[106:107], v[116:117] op_sel:[0,1] op_sel_hi:[1,0]
	v_pk_add_f32 v[106:107], v[106:107], v[116:117] op_sel:[0,1] op_sel_hi:[1,0] neg_lo:[0,1] neg_hi:[0,1]
	v_pk_add_f32 v[116:117], v[32:33], v[36:37] neg_lo:[0,1] neg_hi:[0,1]
	ds_write2st64_b64 v119, v[154:155], v[126:127] offset0:6 offset1:7
	v_mov_b32_e32 v31, v157
	v_mov_b32_e32 v35, v169
	;; [unrolled: 1-line block ×4, first 2 shown]
	v_pk_mul_f32 v[126:127], v[116:117], s[2:3] op_sel_hi:[1,0]
	v_pk_add_f32 v[128:129], v[42:43], v[38:39] neg_lo:[0,1] neg_hi:[0,1]
	v_pk_add_f32 v[106:107], v[106:107], v[126:127] op_sel:[0,1] op_sel_hi:[1,0] neg_lo:[0,1] neg_hi:[0,1]
	v_pk_add_f32 v[126:127], v[120:121], v[126:127] op_sel:[0,1] op_sel_hi:[1,0]
	v_pk_add_f32 v[120:121], v[30:31], v[34:35] neg_lo:[0,1] neg_hi:[0,1]
	v_pk_add_f32 v[154:155], v[30:31], v[42:43] neg_lo:[0,1] neg_hi:[0,1]
	v_pk_add_f32 v[128:129], v[120:121], v[128:129]
	v_pk_add_f32 v[120:121], v[34:35], v[38:39]
	v_pk_mul_f32 v[156:157], v[154:155], s[8:9] op_sel_hi:[1,0]
	v_pk_fma_f32 v[120:121], v[120:121], 0.5, v[26:27] op_sel_hi:[1,0,1] neg_lo:[1,0,0] neg_hi:[1,0,0]
	v_lshrrev_b32_e32 v13, 6, v44
	v_pk_add_f32 v[158:159], v[120:121], v[156:157] op_sel:[0,1] op_sel_hi:[1,0]
	v_pk_add_f32 v[120:121], v[120:121], v[156:157] op_sel:[0,1] op_sel_hi:[1,0] neg_lo:[0,1] neg_hi:[0,1]
	v_pk_add_f32 v[156:157], v[34:35], v[38:39] neg_lo:[0,1] neg_hi:[0,1]
	v_mul_u32_u24_e32 v13, 0x280, v13
	v_pk_mul_f32 v[160:161], v[156:157], s[2:3] op_sel_hi:[1,0]
	v_or_b32_e32 v13, v13, v45
	v_pk_add_f32 v[162:163], v[120:121], v[160:161] op_sel:[0,1] op_sel_hi:[1,0] neg_lo:[0,1] neg_hi:[0,1]
	v_pk_add_f32 v[158:159], v[158:159], v[160:161] op_sel:[0,1] op_sel_hi:[1,0]
	v_mov_b32_e32 v121, v163
	v_mov_b32_e32 v120, v158
	v_pk_fma_f32 v[120:121], v[128:129], s[12:13], v[120:121] op_sel_hi:[1,0,1]
	v_pk_add_f32 v[44:45], v[100:101], v[28:29]
	v_pk_mul_f32 v[160:161], v[120:121], s[2:3] op_sel_hi:[1,0]
	v_pk_add_f32 v[44:45], v[44:45], v[32:33]
	v_pk_fma_f32 v[164:165], v[120:121], s[14:15], v[160:161] op_sel:[0,0,1] op_sel_hi:[1,0,0]
	v_pk_fma_f32 v[120:121], v[120:121], s[14:15], v[160:161] op_sel:[0,0,1] op_sel_hi:[1,0,0] neg_lo:[0,0,1] neg_hi:[0,0,1]
	v_pk_add_f32 v[160:161], v[26:27], v[30:31]
	v_pk_add_f32 v[44:45], v[44:45], v[36:37]
	;; [unrolled: 1-line block ×3, first 2 shown]
	v_mov_b32_e32 v166, v126
	v_pk_add_f32 v[160:161], v[160:161], v[38:39]
	v_mov_b32_e32 v167, v107
	v_mov_b32_e32 v165, v121
	v_pk_add_f32 v[44:45], v[44:45], v[40:41]
	v_pk_add_f32 v[160:161], v[160:161], v[42:43]
	v_pk_fma_f32 v[166:167], v[98:99], s[12:13], v[166:167] op_sel_hi:[1,0,1]
	v_pk_add_f32 v[206:207], v[196:197], v[202:203]
	v_pk_add_f32 v[208:209], v[204:205], v[200:201]
	v_lshlrev_b32_e32 v121, 3, v13
	v_pk_add_f32 v[168:169], v[44:45], v[160:161]
	v_pk_add_f32 v[170:171], v[166:167], v[164:165]
	ds_write2st64_b64 v119, v[206:207], v[208:209] offset1:1
	ds_write2st64_b64 v121, v[168:169], v[170:171] offset1:1
	v_pk_add_f32 v[168:169], v[28:29], v[40:41]
	v_pk_add_f32 v[28:29], v[32:33], v[28:29] neg_lo:[0,1] neg_hi:[0,1]
	v_pk_add_f32 v[32:33], v[36:37], v[40:41] neg_lo:[0,1] neg_hi:[0,1]
	v_pk_fma_f32 v[100:101], v[168:169], 0.5, v[100:101] op_sel_hi:[1,0,1] neg_lo:[1,0,0] neg_hi:[1,0,0]
	v_pk_add_f32 v[28:29], v[28:29], v[32:33]
	v_pk_add_f32 v[32:33], v[30:31], v[42:43]
	v_pk_add_f32 v[30:31], v[34:35], v[30:31] neg_lo:[0,1] neg_hi:[0,1]
	v_pk_fma_f32 v[26:27], v[32:33], 0.5, v[26:27] op_sel_hi:[1,0,1] neg_lo:[1,0,0] neg_hi:[1,0,0]
	v_pk_add_f32 v[32:33], v[38:39], v[42:43] neg_lo:[0,1] neg_hi:[0,1]
	v_pk_mul_f32 v[36:37], v[110:111], s[2:3] op_sel_hi:[1,0]
	v_pk_add_f32 v[30:31], v[30:31], v[32:33]
	v_pk_mul_f32 v[32:33], v[116:117], s[8:9] op_sel_hi:[1,0]
	v_mov_b32_e32 v163, v159
	v_pk_add_f32 v[34:35], v[100:101], v[32:33] op_sel:[0,1] op_sel_hi:[1,0] neg_lo:[0,1] neg_hi:[0,1]
	v_pk_add_f32 v[32:33], v[100:101], v[32:33] op_sel:[0,1] op_sel_hi:[1,0]
	v_pk_add_f32 v[34:35], v[34:35], v[36:37] op_sel:[0,1] op_sel_hi:[1,0]
	v_pk_add_f32 v[32:33], v[32:33], v[36:37] op_sel:[0,1] op_sel_hi:[1,0] neg_lo:[0,1] neg_hi:[0,1]
	v_pk_mul_f32 v[36:37], v[156:157], s[8:9] op_sel_hi:[1,0]
	v_mov_b32_e32 v107, v127
	v_pk_add_f32 v[38:39], v[26:27], v[36:37] op_sel:[0,1] op_sel_hi:[1,0] neg_lo:[0,1] neg_hi:[0,1]
	v_pk_add_f32 v[26:27], v[26:27], v[36:37] op_sel:[0,1] op_sel_hi:[1,0]
	v_pk_mul_f32 v[36:37], v[154:155], s[2:3] op_sel_hi:[1,0]
	s_movk_i32 s3, 0x1000
	v_pk_add_f32 v[26:27], v[26:27], v[36:37] op_sel:[0,1] op_sel_hi:[1,0] neg_lo:[0,1] neg_hi:[0,1]
	v_pk_add_f32 v[36:37], v[38:39], v[36:37] op_sel:[0,1] op_sel_hi:[1,0]
	v_mov_b32_e32 v39, v27
	v_mov_b32_e32 v38, v36
	v_pk_fma_f32 v[38:39], v[30:31], s[12:13], v[38:39] op_sel_hi:[1,0,1]
	v_mov_b32_e32 v27, v37
	v_pk_mul_f32 v[40:41], v[38:39], s[8:9] op_sel_hi:[1,0]
	v_pk_fma_f32 v[26:27], v[30:31], s[12:13], v[26:27] op_sel_hi:[1,0,1]
	v_pk_fma_f32 v[42:43], v[38:39], s[12:13], v[40:41] op_sel:[0,0,1] op_sel_hi:[1,0,0]
	v_pk_fma_f32 v[38:39], v[38:39], s[12:13], v[40:41] op_sel:[0,0,1] op_sel_hi:[1,0,0] neg_lo:[0,0,1] neg_hi:[0,0,1]
	v_pk_mul_f32 v[30:31], v[26:27], s[12:13] op_sel_hi:[1,0]
	v_mov_b32_e32 v43, v39
	v_mov_b32_e32 v38, v34
	;; [unrolled: 1-line block ×4, first 2 shown]
	v_pk_fma_f32 v[34:35], v[28:29], s[12:13], v[38:39] op_sel_hi:[1,0,1]
	v_pk_fma_f32 v[28:29], v[28:29], s[12:13], v[32:33] op_sel_hi:[1,0,1]
	v_pk_fma_f32 v[26:27], v[26:27], s[18:19], v[30:31] op_sel:[0,0,1] op_sel_hi:[1,1,0] neg_lo:[0,0,1] neg_hi:[0,0,1]
	v_pk_add_f32 v[30:31], v[34:35], v[42:43]
	v_pk_add_f32 v[32:33], v[28:29], v[26:27] op_sel:[0,1] op_sel_hi:[1,0]
	ds_write2st64_b64 v121, v[30:31], v[32:33] offset0:2 offset1:3
	v_pk_fma_f32 v[32:33], v[128:129], s[12:13], v[162:163] op_sel_hi:[1,0,1]
	v_pk_fma_f32 v[30:31], v[98:99], s[12:13], v[106:107] op_sel_hi:[1,0,1]
	v_pk_mul_f32 v[36:37], v[32:33], s[14:15] op_sel_hi:[1,0]
	v_pk_add_f32 v[34:35], v[34:35], v[42:43] neg_lo:[0,1] neg_hi:[0,1]
	v_pk_fma_f32 v[32:33], v[32:33], s[20:21], v[36:37] op_sel:[0,0,1] op_sel_hi:[1,1,0] neg_lo:[0,0,1] neg_hi:[0,0,1]
	v_mad_u64_u32 v[42:43], s[10:11], v0, 24, s[10:11]
	v_pk_add_f32 v[36:37], v[44:45], v[160:161] neg_lo:[0,1] neg_hi:[0,1]
	v_pk_add_f32 v[38:39], v[30:31], v[32:33] op_sel:[0,1] op_sel_hi:[1,0]
	v_pk_add_f32 v[26:27], v[28:29], v[26:27] op_sel:[0,1] op_sel_hi:[1,0] neg_lo:[0,1] neg_hi:[0,1]
	v_pk_add_f32 v[28:29], v[30:31], v[32:33] op_sel:[0,1] op_sel_hi:[1,0] neg_lo:[0,1] neg_hi:[0,1]
	v_add_co_u32_e32 v30, vcc, s3, v42
	ds_write2st64_b64 v121, v[38:39], v[36:37] offset0:4 offset1:5
	v_pk_add_f32 v[36:37], v[166:167], v[164:165] neg_lo:[0,1] neg_hi:[0,1]
	v_addc_co_u32_e32 v31, vcc, 0, v43, vcc
	ds_write2st64_b64 v121, v[36:37], v[34:35] offset0:6 offset1:7
	ds_write2st64_b64 v121, v[26:27], v[28:29] offset0:8 offset1:9
	s_waitcnt lgkmcnt(0)
	s_barrier
	global_load_dwordx4 v[26:29], v[30:31], off offset:992
	s_nop 0
	global_load_dwordx4 v[30:33], v[30:31], off offset:4064
	s_mov_b64 s[10:11], 0x13e0
	v_lshl_add_u64 v[34:35], v[42:43], 0, s[10:11]
	global_load_dwordx2 v[100:101], v[34:35], off offset:16
	s_mov_b64 s[10:11], 0x1fe0
	v_lshl_add_u64 v[34:35], v[42:43], 0, s[10:11]
	global_load_dwordx2 v[98:99], v[34:35], off offset:16
	s_mov_b64 s[10:11], 0x2be0
	s_movk_i32 s3, 0x2000
	v_lshl_add_u64 v[38:39], v[42:43], 0, s[10:11]
	global_load_dwordx2 v[106:107], v[38:39], off offset:16
	v_add_co_u32_e32 v34, vcc, s3, v42
	s_movk_i32 s3, 0x3000
	s_nop 0
	v_addc_co_u32_e32 v35, vcc, 0, v43, vcc
	global_load_dwordx4 v[34:37], v[34:35], off offset:3040
	ds_read2st64_b64 v[126:129], v103 offset0:20 offset1:22
	s_mov_b64 s[10:11], 0x37e0
	v_add_co_u32_e32 v38, vcc, s3, v42
	v_lshl_add_u64 v[40:41], v[42:43], 0, s[10:11]
	s_nop 0
	v_addc_co_u32_e32 v39, vcc, 0, v43, vcc
	global_load_dwordx2 v[110:111], v[40:41], off offset:16
	s_nop 0
	global_load_dwordx4 v[38:41], v[38:39], off offset:2016
	ds_read2st64_b64 v[154:157], v103 offset0:8 offset1:10
	s_movk_i32 s3, 0x4000
	s_mov_b64 s[10:11], 0x43e0
	s_mov_b32 s13, s2
	s_mov_b32 s15, s2
	s_waitcnt vmcnt(7)
	v_mov_b32_e32 v114, v29
	s_waitcnt vmcnt(6)
	v_mov_b32_e32 v118, v33
	s_waitcnt lgkmcnt(1)
	v_pk_mul_f32 v[44:45], v[126:127], v[114:115] op_sel_hi:[1,0]
	v_pk_mul_f32 v[116:117], v[128:129], v[118:119] op_sel_hi:[1,0]
	v_pk_fma_f32 v[168:169], v[126:127], v[28:29], v[44:45] op_sel:[0,0,1] op_sel_hi:[1,1,0] neg_lo:[0,0,1] neg_hi:[0,0,1]
	v_pk_fma_f32 v[44:45], v[126:127], v[28:29], v[44:45] op_sel:[0,0,1] op_sel_hi:[1,0,0]
	v_pk_fma_f32 v[170:171], v[128:129], v[32:33], v[116:117] op_sel:[0,0,1] op_sel_hi:[1,1,0] neg_lo:[0,0,1] neg_hi:[0,0,1]
	v_pk_fma_f32 v[164:165], v[128:129], v[32:33], v[116:117] op_sel:[0,0,1] op_sel_hi:[1,0,0]
	ds_read2st64_b64 v[126:129], v103 offset0:28 offset1:30
	v_mov_b32_e32 v169, v45
	s_waitcnt lgkmcnt(1)
	v_pk_mul_f32 v[116:117], v[156:157], v[26:27] op_sel:[0,1]
	v_mov_b32_e32 v171, v165
	v_pk_fma_f32 v[172:173], v[156:157], v[26:27], v[116:117] op_sel:[0,0,1] op_sel_hi:[1,1,0] neg_lo:[0,0,1] neg_hi:[0,0,1]
	s_waitcnt vmcnt(5) lgkmcnt(0)
	v_pk_mul_f32 v[44:45], v[128:129], v[100:101] op_sel:[0,1]
	v_pk_fma_f32 v[116:117], v[156:157], v[26:27], v[116:117] op_sel:[0,0,1] op_sel_hi:[1,0,0]
	v_pk_fma_f32 v[174:175], v[128:129], v[100:101], v[44:45] op_sel:[0,0,1] op_sel_hi:[1,1,0] neg_lo:[0,0,1] neg_hi:[0,0,1]
	v_pk_fma_f32 v[44:45], v[128:129], v[100:101], v[44:45] op_sel:[0,0,1] op_sel_hi:[1,0,0]
	v_mov_b32_e32 v173, v117
	v_add_co_u32_e32 v44, vcc, s3, v42
	v_mov_b32_e32 v175, v45
	s_nop 0
	v_addc_co_u32_e32 v45, vcc, 0, v43, vcc
	v_lshl_add_u64 v[42:43], v[42:43], 0, s[10:11]
	ds_read2st64_b64 v[156:159], v103 offset0:12 offset1:14
	global_load_dwordx2 v[116:117], v[42:43], off offset:16
	s_nop 0
	global_load_dwordx4 v[42:45], v[44:45], off offset:992
	ds_read2st64_b64 v[160:163], v103 offset0:32 offset1:34
	ds_read2st64_b64 v[164:167], v103 offset1:2
	s_waitcnt vmcnt(4)
	v_mov_b32_e32 v124, v37
	s_waitcnt lgkmcnt(2)
	v_pk_mul_f32 v[128:129], v[156:157], v[30:31] op_sel:[0,1]
	s_waitcnt vmcnt(2)
	v_mov_b32_e32 v120, v41
	v_pk_fma_f32 v[176:177], v[156:157], v[30:31], v[128:129] op_sel:[0,0,1] op_sel_hi:[1,1,0] neg_lo:[0,0,1] neg_hi:[0,0,1]
	v_pk_fma_f32 v[128:129], v[156:157], v[30:31], v[128:129] op_sel:[0,0,1] op_sel_hi:[1,0,0]
	s_mov_b32 s10, 0xbe9e377a
	v_mov_b32_e32 v177, v129
	s_waitcnt lgkmcnt(1)
	v_pk_mul_f32 v[128:129], v[160:161], v[98:99] op_sel:[0,1]
	s_mov_b32 s11, s8
	v_pk_fma_f32 v[156:157], v[160:161], v[98:99], v[128:129] op_sel:[0,0,1] op_sel_hi:[1,1,0] neg_lo:[0,0,1] neg_hi:[0,0,1]
	v_pk_fma_f32 v[128:129], v[160:161], v[98:99], v[128:129] op_sel:[0,0,1] op_sel_hi:[1,0,0]
	s_waitcnt vmcnt(0)
	v_mov_b32_e32 v122, v45
	v_mov_b32_e32 v157, v129
	s_waitcnt lgkmcnt(0)
	v_pk_add_f32 v[128:129], v[164:165], v[168:169] neg_lo:[0,1] neg_hi:[0,1]
	v_pk_add_f32 v[168:169], v[166:167], v[170:171] neg_lo:[0,1] neg_hi:[0,1]
	;; [unrolled: 1-line block ×3, first 2 shown]
	v_pk_fma_f32 v[160:161], v[164:165], 2.0, v[128:129] op_sel_hi:[1,0,1] neg_lo:[0,0,1] neg_hi:[0,0,1]
	v_pk_fma_f32 v[164:165], v[166:167], 2.0, v[168:169] op_sel_hi:[1,0,1] neg_lo:[0,0,1] neg_hi:[0,0,1]
	;; [unrolled: 1-line block ×3, first 2 shown]
	v_pk_add_f32 v[172:173], v[176:177], v[156:157] neg_lo:[0,1] neg_hi:[0,1]
	v_pk_add_f32 v[166:167], v[160:161], v[166:167] neg_lo:[0,1] neg_hi:[0,1]
	v_pk_fma_f32 v[156:157], v[176:177], 2.0, v[172:173] op_sel_hi:[1,0,1] neg_lo:[0,0,1] neg_hi:[0,0,1]
	v_pk_fma_f32 v[160:161], v[160:161], 2.0, v[166:167] op_sel_hi:[1,0,1] neg_lo:[0,0,1] neg_hi:[0,0,1]
	v_pk_add_f32 v[156:157], v[164:165], v[156:157] neg_lo:[0,1] neg_hi:[0,1]
	v_pk_add_f32 v[176:177], v[168:169], v[172:173] op_sel:[0,1] op_sel_hi:[1,0] neg_lo:[0,1] neg_hi:[0,1]
	v_pk_fma_f32 v[164:165], v[164:165], 2.0, v[156:157] op_sel_hi:[1,0,1] neg_lo:[0,0,1] neg_hi:[0,0,1]
	ds_write2st64_b64 v103, v[160:161], v[164:165] offset1:2
	ds_write2st64_b64 v103, v[166:167], v[156:157] offset0:20 offset1:22
	v_pk_mul_f32 v[156:157], v[158:159], v[34:35] op_sel:[0,1]
	s_nop 0
	v_pk_fma_f32 v[174:175], v[158:159], v[34:35], v[156:157] op_sel:[0,0,1] op_sel_hi:[1,1,0] neg_lo:[0,0,1] neg_hi:[0,0,1]
	v_pk_fma_f32 v[160:161], v[158:159], v[34:35], v[156:157] op_sel:[0,0,1] op_sel_hi:[1,0,0]
	v_pk_mul_f32 v[156:157], v[162:163], v[106:107] op_sel:[0,1]
	v_mov_b32_e32 v175, v161
	v_pk_fma_f32 v[164:165], v[162:163], v[106:107], v[156:157] op_sel:[0,0,1] op_sel_hi:[1,1,0] neg_lo:[0,0,1] neg_hi:[0,0,1]
	v_pk_fma_f32 v[166:167], v[162:163], v[106:107], v[156:157] op_sel:[0,0,1] op_sel_hi:[1,0,0]
	ds_read2st64_b64 v[156:159], v103 offset0:24 offset1:26
	v_pk_add_f32 v[162:163], v[168:169], v[172:173] op_sel:[0,1] op_sel_hi:[1,0]
	v_mov_b32_e32 v165, v167
	v_mov_b32_e32 v177, v163
	ds_read2st64_b64 v[160:163], v103 offset0:4 offset1:6
	s_waitcnt lgkmcnt(1)
	v_pk_mul_f32 v[172:173], v[156:157], v[124:125] op_sel_hi:[1,0]
	s_nop 0
	v_pk_fma_f32 v[178:179], v[156:157], v[36:37], v[172:173] op_sel:[0,0,1] op_sel_hi:[1,1,0] neg_lo:[0,0,1] neg_hi:[0,0,1]
	v_pk_fma_f32 v[156:157], v[156:157], v[36:37], v[172:173] op_sel:[0,0,1] op_sel_hi:[1,0,0]
	s_nop 0
	v_mov_b32_e32 v179, v157
	s_waitcnt lgkmcnt(0)
	v_pk_add_f32 v[172:173], v[160:161], v[178:179] neg_lo:[0,1] neg_hi:[0,1]
	v_pk_add_f32 v[156:157], v[174:175], v[164:165] neg_lo:[0,1] neg_hi:[0,1]
	s_nop 0
	v_pk_add_f32 v[164:165], v[172:173], v[156:157] op_sel:[0,1] op_sel_hi:[1,0] neg_lo:[0,1] neg_hi:[0,1]
	v_pk_add_f32 v[166:167], v[172:173], v[156:157] op_sel:[0,1] op_sel_hi:[1,0]
	v_pk_fma_f32 v[174:175], v[174:175], 2.0, v[156:157] op_sel_hi:[1,0,1] neg_lo:[0,0,1] neg_hi:[0,0,1]
	v_mov_b32_e32 v165, v167
	v_pk_fma_f32 v[166:167], v[168:169], 2.0, v[176:177] op_sel_hi:[1,0,1] neg_lo:[0,0,1] neg_hi:[0,0,1]
	v_pk_fma_f32 v[168:169], v[172:173], 2.0, v[164:165] op_sel_hi:[1,0,1] neg_lo:[0,0,1] neg_hi:[0,0,1]
	ds_write2st64_b64 v103, v[166:167], v[168:169] offset0:12 offset1:14
	ds_write2st64_b64 v103, v[176:177], v[164:165] offset0:32 offset1:34
	ds_read2st64_b64 v[164:167], v103 offset0:16 offset1:18
	v_pk_mul_f32 v[168:169], v[158:159], v[120:121] op_sel_hi:[1,0]
	s_waitcnt lgkmcnt(0)
	v_pk_mul_f32 v[178:179], v[164:165], v[38:39] op_sel:[0,1]
	v_pk_fma_f32 v[176:177], v[158:159], v[40:41], v[168:169] op_sel:[0,0,1] op_sel_hi:[1,1,0] neg_lo:[0,0,1] neg_hi:[0,0,1]
	v_pk_fma_f32 v[168:169], v[158:159], v[40:41], v[168:169] op_sel:[0,0,1] op_sel_hi:[1,0,0]
	ds_read2st64_b64 v[156:159], v103 offset0:36 offset1:38
	v_pk_fma_f32 v[180:181], v[164:165], v[38:39], v[178:179] op_sel:[0,0,1] op_sel_hi:[1,1,0] neg_lo:[0,0,1] neg_hi:[0,0,1]
	v_pk_fma_f32 v[164:165], v[164:165], v[38:39], v[178:179] op_sel:[0,0,1] op_sel_hi:[1,0,0]
	v_mov_b32_e32 v177, v169
	v_mov_b32_e32 v181, v165
	s_waitcnt lgkmcnt(0)
	v_pk_mul_f32 v[164:165], v[156:157], v[110:111] op_sel:[0,1]
	s_nop 0
	v_pk_fma_f32 v[168:169], v[156:157], v[110:111], v[164:165] op_sel:[0,0,1] op_sel_hi:[1,1,0] neg_lo:[0,0,1] neg_hi:[0,0,1]
	v_pk_fma_f32 v[156:157], v[156:157], v[110:111], v[164:165] op_sel:[0,0,1] op_sel_hi:[1,0,0]
	s_nop 0
	v_mov_b32_e32 v169, v157
	v_pk_fma_f32 v[156:157], v[160:161], 2.0, v[172:173] op_sel_hi:[1,0,1] neg_lo:[0,0,1] neg_hi:[0,0,1]
	v_pk_add_f32 v[160:161], v[162:163], v[176:177] neg_lo:[0,1] neg_hi:[0,1]
	v_pk_add_f32 v[168:169], v[180:181], v[168:169] neg_lo:[0,1] neg_hi:[0,1]
	v_pk_fma_f32 v[162:163], v[162:163], 2.0, v[160:161] op_sel_hi:[1,0,1] neg_lo:[0,0,1] neg_hi:[0,0,1]
	v_pk_fma_f32 v[172:173], v[180:181], 2.0, v[168:169] op_sel_hi:[1,0,1] neg_lo:[0,0,1] neg_hi:[0,0,1]
	v_pk_add_f32 v[164:165], v[156:157], v[174:175] neg_lo:[0,1] neg_hi:[0,1]
	v_pk_add_f32 v[172:173], v[162:163], v[172:173] neg_lo:[0,1] neg_hi:[0,1]
	v_pk_fma_f32 v[156:157], v[156:157], 2.0, v[164:165] op_sel_hi:[1,0,1] neg_lo:[0,0,1] neg_hi:[0,0,1]
	v_pk_fma_f32 v[162:163], v[162:163], 2.0, v[172:173] op_sel_hi:[1,0,1] neg_lo:[0,0,1] neg_hi:[0,0,1]
	ds_write2st64_b64 v103, v[156:157], v[162:163] offset0:4 offset1:6
	ds_write2st64_b64 v103, v[164:165], v[172:173] offset0:24 offset1:26
	v_pk_mul_f32 v[156:157], v[166:167], v[42:43] op_sel:[0,1]
	v_pk_mul_f32 v[164:165], v[126:127], v[122:123] op_sel_hi:[1,0]
	v_pk_fma_f32 v[162:163], v[166:167], v[42:43], v[156:157] op_sel:[0,0,1] op_sel_hi:[1,1,0] neg_lo:[0,0,1] neg_hi:[0,0,1]
	v_pk_fma_f32 v[156:157], v[166:167], v[42:43], v[156:157] op_sel:[0,0,1] op_sel_hi:[1,0,0]
	v_pk_fma_f32 v[166:167], v[126:127], v[44:45], v[164:165] op_sel:[0,0,1] op_sel_hi:[1,1,0] neg_lo:[0,0,1] neg_hi:[0,0,1]
	v_pk_fma_f32 v[126:127], v[126:127], v[44:45], v[164:165] op_sel:[0,0,1] op_sel_hi:[1,0,0]
	v_pk_mul_f32 v[164:165], v[158:159], v[116:117] op_sel:[0,1]
	v_mov_b32_e32 v163, v157
	v_pk_fma_f32 v[172:173], v[158:159], v[116:117], v[164:165] op_sel:[0,0,1] op_sel_hi:[1,1,0] neg_lo:[0,0,1] neg_hi:[0,0,1]
	v_pk_fma_f32 v[158:159], v[158:159], v[116:117], v[164:165] op_sel:[0,0,1] op_sel_hi:[1,0,0]
	v_mov_b32_e32 v167, v127
	v_mov_b32_e32 v173, v159
	v_pk_add_f32 v[126:127], v[154:155], v[166:167] neg_lo:[0,1] neg_hi:[0,1]
	v_pk_add_f32 v[156:157], v[162:163], v[172:173] neg_lo:[0,1] neg_hi:[0,1]
	v_pk_add_f32 v[164:165], v[128:129], v[170:171] op_sel:[0,1] op_sel_hi:[1,0] neg_lo:[0,1] neg_hi:[0,1]
	v_pk_add_f32 v[170:171], v[128:129], v[170:171] op_sel:[0,1] op_sel_hi:[1,0]
	v_pk_fma_f32 v[154:155], v[154:155], 2.0, v[126:127] op_sel_hi:[1,0,1] neg_lo:[0,0,1] neg_hi:[0,0,1]
	v_pk_fma_f32 v[158:159], v[162:163], 2.0, v[156:157] op_sel_hi:[1,0,1] neg_lo:[0,0,1] neg_hi:[0,0,1]
	v_mov_b32_e32 v165, v171
	v_pk_add_f32 v[158:159], v[154:155], v[158:159] neg_lo:[0,1] neg_hi:[0,1]
	v_pk_fma_f32 v[128:129], v[128:129], 2.0, v[164:165] op_sel_hi:[1,0,1] neg_lo:[0,0,1] neg_hi:[0,0,1]
	v_pk_fma_f32 v[154:155], v[154:155], 2.0, v[158:159] op_sel_hi:[1,0,1] neg_lo:[0,0,1] neg_hi:[0,0,1]
	ds_write2st64_b64 v103, v[154:155], v[128:129] offset0:8 offset1:10
	v_pk_add_f32 v[128:129], v[160:161], v[168:169] op_sel:[0,1] op_sel_hi:[1,0] neg_lo:[0,1] neg_hi:[0,1]
	v_pk_add_f32 v[154:155], v[160:161], v[168:169] op_sel:[0,1] op_sel_hi:[1,0]
	s_nop 0
	v_mov_b32_e32 v129, v155
	v_pk_add_f32 v[154:155], v[126:127], v[156:157] op_sel:[0,1] op_sel_hi:[1,0] neg_lo:[0,1] neg_hi:[0,1]
	v_pk_add_f32 v[156:157], v[126:127], v[156:157] op_sel:[0,1] op_sel_hi:[1,0]
	s_nop 0
	v_mov_b32_e32 v155, v157
	v_pk_fma_f32 v[156:157], v[160:161], 2.0, v[128:129] op_sel_hi:[1,0,1] neg_lo:[0,0,1] neg_hi:[0,0,1]
	v_pk_fma_f32 v[126:127], v[126:127], 2.0, v[154:155] op_sel_hi:[1,0,1] neg_lo:[0,0,1] neg_hi:[0,0,1]
	ds_write2st64_b64 v103, v[156:157], v[126:127] offset0:16 offset1:18
	ds_write2st64_b64 v103, v[158:159], v[164:165] offset0:28 offset1:30
	;; [unrolled: 1-line block ×3, first 2 shown]
	s_waitcnt lgkmcnt(0)
	s_barrier
	global_load_dwordx2 v[128:129], v103, s[16:17]
	global_load_dwordx2 v[126:127], v103, s[16:17] offset:1024
	global_load_dwordx2 v[162:163], v105, s[16:17]
	global_load_dwordx2 v[164:165], v123, s[16:17]
	;; [unrolled: 1-line block ×7, first 2 shown]
	global_load_dwordx2 v[176:177], v103, s[16:17] offset:2048
	global_load_dwordx2 v[178:179], v103, s[16:17] offset:3072
	global_load_dwordx2 v[180:181], v153, s[16:17]
	global_load_dwordx2 v[182:183], v93, s[16:17]
	;; [unrolled: 1-line block ×7, first 2 shown]
	ds_read2st64_b64 v[154:157], v103 offset1:2
	global_load_dwordx2 v[194:195], v151, s[16:17]
	ds_read2st64_b64 v[158:161], v103 offset0:20 offset1:22
	s_waitcnt vmcnt(18) lgkmcnt(1)
	v_mul_f32_e32 v1, v155, v129
	v_mul_f32_e32 v197, v154, v129
	v_fma_f32 v196, v154, v128, -v1
	v_fmac_f32_e32 v197, v155, v128
	global_load_dwordx2 v[154:155], v152, s[16:17]
	s_waitcnt vmcnt(18)
	v_mul_f32_e32 v1, v157, v127
	v_mul_f32_e32 v199, v156, v127
	v_fma_f32 v198, v156, v126, -v1
	v_fmac_f32_e32 v199, v157, v126
	ds_read2st64_b64 v[126:129], v103 offset0:12 offset1:14
	ds_read2st64_b64 v[150:153], v103 offset0:32 offset1:34
	s_waitcnt vmcnt(17) lgkmcnt(2)
	v_mul_f32_e32 v1, v159, v163
	v_fma_f32 v156, v158, v162, -v1
	v_mul_f32_e32 v157, v158, v163
	s_waitcnt vmcnt(16)
	v_mul_f32_e32 v1, v161, v165
	v_fmac_f32_e32 v157, v159, v162
	v_fma_f32 v158, v160, v164, -v1
	v_mul_f32_e32 v159, v160, v165
	s_waitcnt vmcnt(15) lgkmcnt(1)
	v_mul_f32_e32 v1, v127, v167
	v_fmac_f32_e32 v159, v161, v164
	v_fma_f32 v160, v126, v166, -v1
	v_mul_f32_e32 v161, v126, v167
	s_waitcnt vmcnt(14)
	v_mul_f32_e32 v1, v129, v169
	v_mul_f32_e32 v163, v128, v169
	v_fmac_f32_e32 v161, v127, v166
	v_fma_f32 v162, v128, v168, -v1
	v_fmac_f32_e32 v163, v129, v168
	s_waitcnt vmcnt(12) lgkmcnt(0)
	v_mul_f32_e32 v1, v151, v173
	ds_read2st64_b64 v[126:129], v103 offset0:4 offset1:6
	v_fma_f32 v164, v150, v172, -v1
	v_mul_f32_e32 v165, v150, v173
	s_waitcnt vmcnt(11)
	v_mul_f32_e32 v1, v153, v175
	v_mul_f32_e32 v167, v152, v175
	v_fmac_f32_e32 v165, v151, v172
	v_fma_f32 v166, v152, v174, -v1
	v_fmac_f32_e32 v167, v153, v174
	ds_read2st64_b64 v[150:153], v103 offset0:24 offset1:26
	s_waitcnt vmcnt(10) lgkmcnt(1)
	v_mul_f32_e32 v1, v127, v177
	v_fma_f32 v168, v126, v176, -v1
	v_mul_f32_e32 v169, v126, v177
	s_waitcnt vmcnt(9)
	v_mul_f32_e32 v1, v129, v179
	v_mul_f32_e32 v173, v128, v179
	v_fmac_f32_e32 v169, v127, v176
	v_fma_f32 v172, v128, v178, -v1
	v_fmac_f32_e32 v173, v129, v178
	s_waitcnt lgkmcnt(0)
	v_mul_f32_e32 v1, v151, v171
	ds_read2st64_b64 v[126:129], v103 offset0:8 offset1:10
	v_fma_f32 v174, v150, v170, -v1
	v_mul_f32_e32 v175, v150, v171
	s_waitcnt vmcnt(8)
	v_mul_f32_e32 v1, v153, v181
	v_mul_f32_e32 v171, v152, v181
	v_fmac_f32_e32 v175, v151, v170
	v_fma_f32 v170, v152, v180, -v1
	v_fmac_f32_e32 v171, v153, v180
	ds_read2st64_b64 v[150:153], v103 offset0:16 offset1:18
	s_waitcnt vmcnt(6) lgkmcnt(1)
	v_mul_f32_e32 v1, v129, v185
	v_fma_f32 v176, v128, v184, -v1
	v_mul_f32_e32 v177, v128, v185
	s_waitcnt vmcnt(5)
	v_mul_f32_e32 v1, v127, v187
	v_mul_f32_e32 v179, v126, v187
	v_fmac_f32_e32 v177, v129, v184
	v_fma_f32 v178, v126, v186, -v1
	v_fmac_f32_e32 v179, v127, v186
	s_waitcnt vmcnt(3) lgkmcnt(0)
	v_mul_f32_e32 v1, v151, v191
	ds_read2st64_b64 v[126:129], v103 offset0:28 offset1:30
	v_fma_f32 v180, v150, v190, -v1
	v_mul_f32_e32 v181, v150, v191
	s_waitcnt vmcnt(2)
	v_mul_f32_e32 v1, v153, v193
	v_mul_f32_e32 v185, v152, v193
	v_fmac_f32_e32 v181, v151, v190
	v_fma_f32 v184, v152, v192, -v1
	v_fmac_f32_e32 v185, v153, v192
	ds_read2st64_b64 v[150:153], v103 offset0:36 offset1:38
	s_waitcnt lgkmcnt(1)
	v_mul_f32_e32 v1, v129, v183
	v_mul_f32_e32 v187, v128, v183
	v_fma_f32 v186, v128, v182, -v1
	v_fmac_f32_e32 v187, v129, v182
	s_waitcnt vmcnt(1)
	v_mul_f32_e32 v1, v127, v195
	v_mul_f32_e32 v129, v126, v195
	v_fma_f32 v128, v126, v194, -v1
	v_fmac_f32_e32 v129, v127, v194
	s_waitcnt lgkmcnt(0)
	v_mul_f32_e32 v1, v151, v189
	v_mul_f32_e32 v127, v150, v189
	v_fma_f32 v126, v150, v188, -v1
	v_fmac_f32_e32 v127, v151, v188
	s_waitcnt vmcnt(0)
	v_mul_f32_e32 v1, v153, v155
	v_mul_f32_e32 v151, v152, v155
	v_fma_f32 v150, v152, v154, -v1
	v_fmac_f32_e32 v151, v153, v154
	ds_write2st64_b64 v103, v[196:197], v[198:199] offset1:2
	ds_write2st64_b64 v103, v[156:157], v[158:159] offset0:20 offset1:22
	ds_write2st64_b64 v103, v[160:161], v[162:163] offset0:12 offset1:14
	;; [unrolled: 1-line block ×9, first 2 shown]
	s_waitcnt lgkmcnt(0)
	s_barrier
	ds_read2st64_b64 v[126:129], v103 offset1:2
	ds_read2st64_b64 v[150:153], v103 offset0:20 offset1:22
	ds_read2st64_b64 v[154:157], v103 offset0:12 offset1:14
	;; [unrolled: 1-line block ×9, first 2 shown]
	s_waitcnt lgkmcnt(0)
	v_pk_add_f32 v[164:165], v[128:129], v[152:153] neg_lo:[0,1] neg_hi:[0,1]
	s_barrier
	v_pk_add_f32 v[158:159], v[154:155], v[158:159] neg_lo:[0,1] neg_hi:[0,1]
	v_pk_fma_f32 v[128:129], v[128:129], 2.0, v[164:165] op_sel_hi:[1,0,1] neg_lo:[0,0,1] neg_hi:[0,0,1]
	v_pk_fma_f32 v[152:153], v[154:155], 2.0, v[158:159] op_sel_hi:[1,0,1] neg_lo:[0,0,1] neg_hi:[0,0,1]
	v_pk_add_f32 v[154:155], v[164:165], v[158:159] op_sel:[0,1] op_sel_hi:[1,0]
	v_pk_add_f32 v[152:153], v[128:129], v[152:153] neg_lo:[0,1] neg_hi:[0,1]
	v_pk_add_f32 v[158:159], v[164:165], v[158:159] op_sel:[0,1] op_sel_hi:[1,0] neg_lo:[0,1] neg_hi:[0,1]
	v_pk_fma_f32 v[162:163], v[128:129], 2.0, v[152:153] op_sel_hi:[1,0,1] neg_lo:[0,0,1] neg_hi:[0,0,1]
	v_mov_b32_e32 v155, v159
	v_pk_add_f32 v[128:129], v[156:157], v[160:161] neg_lo:[0,1] neg_hi:[0,1]
	v_pk_add_f32 v[158:159], v[174:175], v[178:179] neg_lo:[0,1] neg_hi:[0,1]
	v_pk_fma_f32 v[164:165], v[164:165], 2.0, v[154:155] op_sel_hi:[1,0,1] neg_lo:[0,0,1] neg_hi:[0,0,1]
	ds_write_b128 v137, v[152:155] offset:16
	v_pk_fma_f32 v[136:137], v[156:157], 2.0, v[128:129] op_sel_hi:[1,0,1] neg_lo:[0,0,1] neg_hi:[0,0,1]
	v_pk_fma_f32 v[156:157], v[174:175], 2.0, v[158:159] op_sel_hi:[1,0,1] neg_lo:[0,0,1] neg_hi:[0,0,1]
	v_pk_add_f32 v[154:155], v[158:159], v[128:129] op_sel:[0,1] op_sel_hi:[1,0]
	v_pk_add_f32 v[128:129], v[158:159], v[128:129] op_sel:[0,1] op_sel_hi:[1,0] neg_lo:[0,1] neg_hi:[0,1]
	v_pk_add_f32 v[152:153], v[156:157], v[136:137] neg_lo:[0,1] neg_hi:[0,1]
	v_mov_b32_e32 v155, v129
	v_pk_add_f32 v[128:129], v[176:177], v[180:181] neg_lo:[0,1] neg_hi:[0,1]
	v_pk_add_f32 v[136:137], v[182:183], v[186:187] neg_lo:[0,1] neg_hi:[0,1]
	v_pk_fma_f32 v[156:157], v[156:157], 2.0, v[152:153] op_sel_hi:[1,0,1] neg_lo:[0,0,1] neg_hi:[0,0,1]
	v_pk_fma_f32 v[158:159], v[158:159], 2.0, v[154:155] op_sel_hi:[1,0,1] neg_lo:[0,0,1] neg_hi:[0,0,1]
	ds_write_b128 v133, v[152:155] offset:16
	ds_write_b128 v131, v[156:159] offset:8192
	v_pk_fma_f32 v[132:133], v[176:177], 2.0, v[128:129] op_sel_hi:[1,0,1] neg_lo:[0,0,1] neg_hi:[0,0,1]
	v_pk_fma_f32 v[152:153], v[182:183], 2.0, v[136:137] op_sel_hi:[1,0,1] neg_lo:[0,0,1] neg_hi:[0,0,1]
	v_pk_add_f32 v[154:155], v[128:129], v[136:137] op_sel:[0,1] op_sel_hi:[1,0]
	v_pk_add_f32 v[136:137], v[128:129], v[136:137] op_sel:[0,1] op_sel_hi:[1,0] neg_lo:[0,1] neg_hi:[0,1]
	v_pk_add_f32 v[152:153], v[132:133], v[152:153] neg_lo:[0,1] neg_hi:[0,1]
	v_mov_b32_e32 v155, v137
	v_pk_fma_f32 v[156:157], v[132:133], 2.0, v[152:153] op_sel_hi:[1,0,1] neg_lo:[0,0,1] neg_hi:[0,0,1]
	v_pk_fma_f32 v[158:159], v[128:129], 2.0, v[154:155] op_sel_hi:[1,0,1] neg_lo:[0,0,1] neg_hi:[0,0,1]
	v_pk_add_f32 v[132:133], v[126:127], v[150:151] neg_lo:[0,1] neg_hi:[0,1]
	v_pk_add_f32 v[136:137], v[168:169], v[172:173] neg_lo:[0,1] neg_hi:[0,1]
	ds_write_b128 v131, v[156:159] offset:12288
	ds_write_b128 v130, v[152:155] offset:16
	v_pk_fma_f32 v[130:131], v[126:127], 2.0, v[132:133] op_sel_hi:[1,0,1] neg_lo:[0,0,1] neg_hi:[0,0,1]
	v_pk_fma_f32 v[126:127], v[168:169], 2.0, v[136:137] op_sel_hi:[1,0,1] neg_lo:[0,0,1] neg_hi:[0,0,1]
	v_pk_add_f32 v[128:129], v[132:133], v[136:137] op_sel:[0,1] op_sel_hi:[1,0]
	v_pk_add_f32 v[136:137], v[132:133], v[136:137] op_sel:[0,1] op_sel_hi:[1,0] neg_lo:[0,1] neg_hi:[0,1]
	v_pk_add_f32 v[126:127], v[130:131], v[126:127] neg_lo:[0,1] neg_hi:[0,1]
	v_mov_b32_e32 v129, v137
	v_pk_fma_f32 v[130:131], v[130:131], 2.0, v[126:127] op_sel_hi:[1,0,1] neg_lo:[0,0,1] neg_hi:[0,0,1]
	v_pk_fma_f32 v[132:133], v[132:133], 2.0, v[128:129] op_sel_hi:[1,0,1] neg_lo:[0,0,1] neg_hi:[0,0,1]
	ds_write_b128 v89, v[130:133]
	ds_write_b128 v89, v[126:129] offset:16
	ds_write_b128 v89, v[162:165] offset:4096
	v_pk_add_f32 v[132:133], v[166:167], v[170:171] neg_lo:[0,1] neg_hi:[0,1]
	v_pk_add_f32 v[136:137], v[184:185], v[188:189] neg_lo:[0,1] neg_hi:[0,1]
	v_pk_fma_f32 v[130:131], v[166:167], 2.0, v[132:133] op_sel_hi:[1,0,1] neg_lo:[0,0,1] neg_hi:[0,0,1]
	v_pk_fma_f32 v[126:127], v[184:185], 2.0, v[136:137] op_sel_hi:[1,0,1] neg_lo:[0,0,1] neg_hi:[0,0,1]
	v_pk_add_f32 v[128:129], v[132:133], v[136:137] op_sel:[0,1] op_sel_hi:[1,0]
	v_pk_add_f32 v[136:137], v[132:133], v[136:137] op_sel:[0,1] op_sel_hi:[1,0] neg_lo:[0,1] neg_hi:[0,1]
	v_pk_add_f32 v[126:127], v[130:131], v[126:127] neg_lo:[0,1] neg_hi:[0,1]
	v_mov_b32_e32 v129, v137
	v_pk_fma_f32 v[130:131], v[130:131], 2.0, v[126:127] op_sel_hi:[1,0,1] neg_lo:[0,0,1] neg_hi:[0,0,1]
	v_pk_fma_f32 v[132:133], v[132:133], 2.0, v[128:129] op_sel_hi:[1,0,1] neg_lo:[0,0,1] neg_hi:[0,0,1]
	ds_write_b128 v89, v[130:133] offset:16384
	ds_write_b128 v113, v[126:129] offset:16
	s_waitcnt lgkmcnt(0)
	s_barrier
	ds_read2st64_b64 v[126:129], v103 offset0:36 offset1:38
	ds_read2st64_b64 v[130:133], v103 offset0:32 offset1:34
	s_mov_b32 s16, 0xbf4f1bbd
	s_mov_b32 s17, s2
	s_waitcnt lgkmcnt(1)
	v_pk_mul_f32 v[136:137], v[90:91], v[128:129] op_sel:[1,0]
	s_nop 0
	v_pk_fma_f32 v[150:151], v[90:91], v[128:129], v[136:137] op_sel:[0,0,1] op_sel_hi:[1,1,0]
	v_pk_fma_f32 v[136:137], v[90:91], v[128:129], v[136:137] op_sel:[0,0,1] op_sel_hi:[0,1,0] neg_lo:[0,0,1] neg_hi:[0,0,1]
	v_pk_mul_f32 v[128:129], v[90:91], v[126:127] op_sel:[1,0]
	s_waitcnt lgkmcnt(0)
	v_pk_mul_f32 v[156:157], v[90:91], v[132:133] op_sel:[1,0]
	v_pk_fma_f32 v[152:153], v[90:91], v[126:127], v[128:129] op_sel:[0,0,1] op_sel_hi:[1,1,0]
	v_pk_fma_f32 v[154:155], v[90:91], v[126:127], v[128:129] op_sel:[0,0,1] op_sel_hi:[0,1,0] neg_lo:[0,0,1] neg_hi:[0,0,1]
	ds_read2st64_b64 v[126:129], v103 offset0:28 offset1:30
	v_pk_fma_f32 v[158:159], v[90:91], v[132:133], v[156:157] op_sel:[0,0,1] op_sel_hi:[1,1,0]
	v_pk_fma_f32 v[156:157], v[90:91], v[132:133], v[156:157] op_sel:[0,0,1] op_sel_hi:[0,1,0] neg_lo:[0,0,1] neg_hi:[0,0,1]
	v_pk_mul_f32 v[132:133], v[90:91], v[130:131] op_sel:[1,0]
	v_mov_b32_e32 v159, v157
	v_pk_fma_f32 v[160:161], v[90:91], v[130:131], v[132:133] op_sel:[0,0,1] op_sel_hi:[1,1,0]
	v_pk_fma_f32 v[162:163], v[90:91], v[130:131], v[132:133] op_sel:[0,0,1] op_sel_hi:[0,1,0] neg_lo:[0,0,1] neg_hi:[0,0,1]
	ds_read2st64_b64 v[130:133], v103 offset0:16 offset1:18
	s_waitcnt lgkmcnt(1)
	v_pk_mul_f32 v[164:165], v[90:91], v[128:129] op_sel:[1,0]
	v_mov_b32_e32 v161, v163
	v_pk_fma_f32 v[166:167], v[90:91], v[128:129], v[164:165] op_sel:[0,0,1] op_sel_hi:[1,1,0]
	v_pk_fma_f32 v[164:165], v[90:91], v[128:129], v[164:165] op_sel:[0,0,1] op_sel_hi:[0,1,0] neg_lo:[0,0,1] neg_hi:[0,0,1]
	v_pk_mul_f32 v[90:91], v[88:89], v[126:127] op_sel_hi:[0,1]
	v_pk_fma_f32 v[168:169], v[4:5], v[126:127], v[90:91] op_sel:[0,0,1] op_sel_hi:[1,1,0]
	v_pk_fma_f32 v[170:171], v[4:5], v[126:127], v[90:91] op_sel:[0,0,1] op_sel_hi:[0,1,0] neg_lo:[0,0,1] neg_hi:[0,0,1]
	ds_read2st64_b64 v[126:129], v103 offset0:24 offset1:26
	s_waitcnt lgkmcnt(1)
	v_pk_mul_f32 v[90:91], v[2:3], v[132:133] op_sel:[1,0]
	v_mov_b32_e32 v167, v165
	v_pk_fma_f32 v[172:173], v[2:3], v[132:133], v[90:91] op_sel:[0,0,1] op_sel_hi:[1,1,0]
	v_pk_fma_f32 v[174:175], v[2:3], v[132:133], v[90:91] op_sel:[0,0,1] op_sel_hi:[0,1,0] neg_lo:[0,0,1] neg_hi:[0,0,1]
	v_pk_mul_f32 v[90:91], v[2:3], v[130:131] op_sel:[1,0]
	v_mov_b32_e32 v153, v155
	v_pk_fma_f32 v[176:177], v[2:3], v[130:131], v[90:91] op_sel:[0,0,1] op_sel_hi:[1,1,0]
	v_pk_fma_f32 v[178:179], v[2:3], v[130:131], v[90:91] op_sel:[0,0,1] op_sel_hi:[0,1,0] neg_lo:[0,0,1] neg_hi:[0,0,1]
	ds_read2st64_b64 v[130:133], v103 offset0:12 offset1:14
	s_waitcnt lgkmcnt(1)
	v_pk_mul_f32 v[90:91], v[88:89], v[128:129] op_sel_hi:[0,1]
	v_pk_fma_f32 v[180:181], v[4:5], v[128:129], v[90:91] op_sel:[0,0,1] op_sel_hi:[1,1,0]
	v_pk_fma_f32 v[182:183], v[4:5], v[128:129], v[90:91] op_sel:[0,0,1] op_sel_hi:[0,1,0] neg_lo:[0,0,1] neg_hi:[0,0,1]
	v_pk_mul_f32 v[90:91], v[88:89], v[126:127] op_sel_hi:[0,1]
	v_pk_fma_f32 v[184:185], v[4:5], v[126:127], v[90:91] op_sel:[0,0,1] op_sel_hi:[1,1,0]
	v_pk_fma_f32 v[186:187], v[4:5], v[126:127], v[90:91] op_sel:[0,0,1] op_sel_hi:[0,1,0] neg_lo:[0,0,1] neg_hi:[0,0,1]
	ds_read2st64_b64 v[126:129], v103 offset0:20 offset1:22
	s_waitcnt lgkmcnt(1)
	v_pk_mul_f32 v[90:91], v[2:3], v[132:133] op_sel:[1,0]
	v_mov_b32_e32 v185, v187
	v_pk_fma_f32 v[188:189], v[2:3], v[132:133], v[90:91] op_sel:[0,0,1] op_sel_hi:[1,1,0]
	v_pk_fma_f32 v[190:191], v[2:3], v[132:133], v[90:91] op_sel:[0,0,1] op_sel_hi:[0,1,0] neg_lo:[0,0,1] neg_hi:[0,0,1]
	v_pk_mul_f32 v[90:91], v[2:3], v[130:131] op_sel:[1,0]
	v_mov_b32_e32 v189, v191
	v_pk_fma_f32 v[192:193], v[2:3], v[130:131], v[90:91] op_sel:[0,0,1] op_sel_hi:[1,1,0]
	v_pk_fma_f32 v[194:195], v[2:3], v[130:131], v[90:91] op_sel:[0,0,1] op_sel_hi:[0,1,0] neg_lo:[0,0,1] neg_hi:[0,0,1]
	ds_read2st64_b64 v[130:133], v103 offset0:8 offset1:10
	s_waitcnt lgkmcnt(1)
	v_pk_mul_f32 v[90:91], v[88:89], v[128:129] op_sel_hi:[0,1]
	v_pk_mul_f32 v[88:89], v[88:89], v[126:127] op_sel_hi:[0,1]
	v_pk_fma_f32 v[196:197], v[4:5], v[128:129], v[90:91] op_sel:[0,0,1] op_sel_hi:[1,1,0]
	v_pk_fma_f32 v[128:129], v[4:5], v[128:129], v[90:91] op_sel:[0,0,1] op_sel_hi:[0,1,0] neg_lo:[0,0,1] neg_hi:[0,0,1]
	v_pk_fma_f32 v[198:199], v[4:5], v[126:127], v[88:89] op_sel:[0,0,1] op_sel_hi:[1,1,0]
	v_pk_fma_f32 v[4:5], v[4:5], v[126:127], v[88:89] op_sel:[0,0,1] op_sel_hi:[0,1,0] neg_lo:[0,0,1] neg_hi:[0,0,1]
	ds_read2st64_b64 v[88:91], v103 offset1:2
	s_waitcnt lgkmcnt(1)
	v_pk_mul_f32 v[126:127], v[2:3], v[132:133] op_sel:[1,0]
	v_mov_b32_e32 v199, v5
	v_pk_fma_f32 v[200:201], v[2:3], v[132:133], v[126:127] op_sel:[0,0,1] op_sel_hi:[1,1,0]
	v_pk_fma_f32 v[2:3], v[2:3], v[132:133], v[126:127] op_sel:[0,0,1] op_sel_hi:[0,1,0] neg_lo:[0,0,1] neg_hi:[0,0,1]
	v_mov_b32_e32 v201, v3
	s_waitcnt lgkmcnt(0)
	v_pk_add_f32 v[126:127], v[88:89], v[198:199] neg_lo:[0,1] neg_hi:[0,1]
	v_pk_add_f32 v[2:3], v[200:201], v[166:167] neg_lo:[0,1] neg_hi:[0,1]
	v_mov_b32_e32 v193, v195
	v_pk_fma_f32 v[4:5], v[200:201], 2.0, v[2:3] op_sel_hi:[1,0,1] neg_lo:[0,0,1] neg_hi:[0,0,1]
	v_pk_add_f32 v[132:133], v[126:127], v[2:3] op_sel:[0,1] op_sel_hi:[1,0]
	v_pk_add_f32 v[2:3], v[126:127], v[2:3] op_sel:[0,1] op_sel_hi:[1,0] neg_lo:[0,1] neg_hi:[0,1]
	v_mov_b32_e32 v197, v129
	v_mov_b32_e32 v133, v3
	v_pk_fma_f32 v[2:3], v[88:89], 2.0, v[126:127] op_sel_hi:[1,0,1] neg_lo:[0,0,1] neg_hi:[0,0,1]
	v_pk_fma_f32 v[126:127], v[126:127], 2.0, v[132:133] op_sel_hi:[1,0,1] neg_lo:[0,0,1] neg_hi:[0,0,1]
	v_pk_add_f32 v[88:89], v[2:3], v[4:5] neg_lo:[0,1] neg_hi:[0,1]
	v_mov_b32_e32 v177, v179
	v_pk_fma_f32 v[164:165], v[2:3], 2.0, v[88:89] op_sel_hi:[1,0,1] neg_lo:[0,0,1] neg_hi:[0,0,1]
	ds_read2st64_b64 v[2:5], v103 offset0:4 offset1:6
	s_waitcnt lgkmcnt(0)
	s_barrier
	ds_write2_b64 v139, v[164:165], v[126:127] offset1:4
	ds_write2_b64 v139, v[88:89], v[132:133] offset0:8 offset1:12
	v_pk_add_f32 v[88:89], v[90:91], v[196:197] neg_lo:[0,1] neg_hi:[0,1]
	v_pk_add_f32 v[126:127], v[192:193], v[160:161] neg_lo:[0,1] neg_hi:[0,1]
	v_pk_fma_f32 v[90:91], v[90:91], 2.0, v[88:89] op_sel_hi:[1,0,1] neg_lo:[0,0,1] neg_hi:[0,0,1]
	v_pk_fma_f32 v[128:129], v[192:193], 2.0, v[126:127] op_sel_hi:[1,0,1] neg_lo:[0,0,1] neg_hi:[0,0,1]
	v_pk_add_f32 v[132:133], v[88:89], v[126:127] op_sel:[0,1] op_sel_hi:[1,0]
	v_pk_add_f32 v[126:127], v[88:89], v[126:127] op_sel:[0,1] op_sel_hi:[1,0] neg_lo:[0,1] neg_hi:[0,1]
	v_mov_b32_e32 v181, v183
	v_mov_b32_e32 v133, v127
	v_pk_add_f32 v[126:127], v[90:91], v[128:129] neg_lo:[0,1] neg_hi:[0,1]
	v_pk_fma_f32 v[88:89], v[88:89], 2.0, v[132:133] op_sel_hi:[1,0,1] neg_lo:[0,0,1] neg_hi:[0,0,1]
	v_pk_fma_f32 v[90:91], v[90:91], 2.0, v[126:127] op_sel_hi:[1,0,1] neg_lo:[0,0,1] neg_hi:[0,0,1]
	ds_write2_b64 v142, v[90:91], v[88:89] offset1:4
	ds_write2_b64 v142, v[126:127], v[132:133] offset0:8 offset1:12
	v_pk_add_f32 v[88:89], v[2:3], v[184:185] neg_lo:[0,1] neg_hi:[0,1]
	v_pk_add_f32 v[90:91], v[188:189], v[158:159] neg_lo:[0,1] neg_hi:[0,1]
	v_pk_fma_f32 v[2:3], v[2:3], 2.0, v[88:89] op_sel_hi:[1,0,1] neg_lo:[0,0,1] neg_hi:[0,0,1]
	v_pk_fma_f32 v[126:127], v[188:189], 2.0, v[90:91] op_sel_hi:[1,0,1] neg_lo:[0,0,1] neg_hi:[0,0,1]
	v_pk_add_f32 v[128:129], v[88:89], v[90:91] op_sel:[0,1] op_sel_hi:[1,0]
	v_pk_add_f32 v[90:91], v[88:89], v[90:91] op_sel:[0,1] op_sel_hi:[1,0] neg_lo:[0,1] neg_hi:[0,1]
	v_mov_b32_e32 v173, v175
	v_mov_b32_e32 v129, v91
	v_pk_add_f32 v[90:91], v[2:3], v[126:127] neg_lo:[0,1] neg_hi:[0,1]
	v_pk_fma_f32 v[88:89], v[88:89], 2.0, v[128:129] op_sel_hi:[1,0,1] neg_lo:[0,0,1] neg_hi:[0,0,1]
	v_pk_fma_f32 v[2:3], v[2:3], 2.0, v[90:91] op_sel_hi:[1,0,1] neg_lo:[0,0,1] neg_hi:[0,0,1]
	;; [unrolled: 13-line block ×3, first 2 shown]
	v_mov_b32_e32 v151, v137
	ds_write2_b64 v138, v[4:5], v[2:3] offset1:4
	ds_write2_b64 v138, v[88:89], v[126:127] offset0:8 offset1:12
	v_pk_add_f32 v[2:3], v[130:131], v[168:169] neg_lo:[0,1] neg_hi:[0,1]
	v_pk_add_f32 v[88:89], v[172:173], v[150:151] neg_lo:[0,1] neg_hi:[0,1]
	v_pk_fma_f32 v[4:5], v[130:131], 2.0, v[2:3] op_sel_hi:[1,0,1] neg_lo:[0,0,1] neg_hi:[0,0,1]
	v_pk_fma_f32 v[90:91], v[172:173], 2.0, v[88:89] op_sel_hi:[1,0,1] neg_lo:[0,0,1] neg_hi:[0,0,1]
	v_pk_add_f32 v[126:127], v[2:3], v[88:89] op_sel:[0,1] op_sel_hi:[1,0]
	v_pk_add_f32 v[88:89], v[2:3], v[88:89] op_sel:[0,1] op_sel_hi:[1,0] neg_lo:[0,1] neg_hi:[0,1]
	s_nop 0
	v_mov_b32_e32 v127, v89
	v_pk_add_f32 v[88:89], v[4:5], v[90:91] neg_lo:[0,1] neg_hi:[0,1]
	v_pk_fma_f32 v[2:3], v[2:3], 2.0, v[126:127] op_sel_hi:[1,0,1] neg_lo:[0,0,1] neg_hi:[0,0,1]
	v_pk_fma_f32 v[4:5], v[4:5], 2.0, v[88:89] op_sel_hi:[1,0,1] neg_lo:[0,0,1] neg_hi:[0,0,1]
	ds_write2_b64 v134, v[4:5], v[2:3] offset1:4
	ds_write2_b64 v134, v[88:89], v[126:127] offset0:8 offset1:12
	s_waitcnt lgkmcnt(0)
	s_barrier
	ds_read2st64_b64 v[88:91], v103 offset0:36 offset1:38
	ds_read2st64_b64 v[126:129], v103 offset0:32 offset1:34
	s_waitcnt lgkmcnt(1)
	v_pk_mul_f32 v[4:5], v[94:95], v[90:91] op_sel:[1,0]
	s_nop 0
	v_pk_fma_f32 v[2:3], v[94:95], v[90:91], v[4:5] op_sel:[0,0,1] op_sel_hi:[1,1,0]
	v_pk_fma_f32 v[130:131], v[94:95], v[90:91], v[4:5] op_sel:[0,0,1] op_sel_hi:[0,1,0] neg_lo:[0,0,1] neg_hi:[0,0,1]
	v_pk_mul_f32 v[4:5], v[94:95], v[88:89] op_sel:[1,0]
	v_mov_b32_e32 v3, v131
	v_pk_fma_f32 v[132:133], v[94:95], v[88:89], v[4:5] op_sel:[0,0,1] op_sel_hi:[1,1,0]
	v_pk_fma_f32 v[134:135], v[94:95], v[88:89], v[4:5] op_sel:[0,0,1] op_sel_hi:[0,1,0] neg_lo:[0,0,1] neg_hi:[0,0,1]
	ds_read2st64_b64 v[88:91], v103 offset0:28 offset1:30
	s_waitcnt lgkmcnt(1)
	v_pk_mul_f32 v[4:5], v[94:95], v[128:129] op_sel:[1,0]
	v_mov_b32_e32 v133, v135
	v_pk_fma_f32 v[136:137], v[94:95], v[128:129], v[4:5] op_sel:[0,0,1] op_sel_hi:[1,1,0]
	v_pk_fma_f32 v[138:139], v[94:95], v[128:129], v[4:5] op_sel:[0,0,1] op_sel_hi:[0,1,0] neg_lo:[0,0,1] neg_hi:[0,0,1]
	v_pk_mul_f32 v[4:5], v[94:95], v[126:127] op_sel:[1,0]
	v_mov_b32_e32 v137, v139
	v_pk_fma_f32 v[140:141], v[94:95], v[126:127], v[4:5] op_sel:[0,0,1] op_sel_hi:[1,1,0]
	v_pk_fma_f32 v[150:151], v[94:95], v[126:127], v[4:5] op_sel:[0,0,1] op_sel_hi:[0,1,0] neg_lo:[0,0,1] neg_hi:[0,0,1]
	ds_read2st64_b64 v[126:129], v103 offset0:16 offset1:18
	s_waitcnt lgkmcnt(1)
	v_pk_mul_f32 v[4:5], v[94:95], v[90:91] op_sel:[1,0]
	v_mov_b32_e32 v141, v151
	v_pk_fma_f32 v[152:153], v[94:95], v[90:91], v[4:5] op_sel:[0,0,1] op_sel_hi:[1,1,0]
	v_pk_fma_f32 v[4:5], v[94:95], v[90:91], v[4:5] op_sel:[0,0,1] op_sel_hi:[0,1,0] neg_lo:[0,0,1] neg_hi:[0,0,1]
	v_pk_mul_f32 v[90:91], v[92:93], v[88:89] op_sel_hi:[0,1]
	v_pk_fma_f32 v[94:95], v[8:9], v[88:89], v[90:91] op_sel:[0,0,1] op_sel_hi:[1,1,0]
	v_pk_fma_f32 v[154:155], v[8:9], v[88:89], v[90:91] op_sel:[0,0,1] op_sel_hi:[0,1,0] neg_lo:[0,0,1] neg_hi:[0,0,1]
	ds_read2st64_b64 v[88:91], v103 offset0:24 offset1:26
	s_waitcnt lgkmcnt(1)
	v_pk_mul_f32 v[156:157], v[6:7], v[128:129] op_sel:[1,0]
	v_mov_b32_e32 v153, v5
	v_pk_fma_f32 v[158:159], v[6:7], v[128:129], v[156:157] op_sel:[0,0,1] op_sel_hi:[1,1,0]
	v_pk_fma_f32 v[156:157], v[6:7], v[128:129], v[156:157] op_sel:[0,0,1] op_sel_hi:[0,1,0] neg_lo:[0,0,1] neg_hi:[0,0,1]
	v_pk_mul_f32 v[128:129], v[6:7], v[126:127] op_sel:[1,0]
	s_waitcnt lgkmcnt(0)
	v_pk_mul_f32 v[164:165], v[92:93], v[90:91] op_sel_hi:[0,1]
	v_pk_fma_f32 v[160:161], v[6:7], v[126:127], v[128:129] op_sel:[0,0,1] op_sel_hi:[1,1,0]
	v_pk_fma_f32 v[162:163], v[6:7], v[126:127], v[128:129] op_sel:[0,0,1] op_sel_hi:[0,1,0] neg_lo:[0,0,1] neg_hi:[0,0,1]
	ds_read2st64_b64 v[126:129], v103 offset0:12 offset1:14
	v_pk_fma_f32 v[166:167], v[8:9], v[90:91], v[164:165] op_sel:[0,0,1] op_sel_hi:[1,1,0]
	v_pk_fma_f32 v[164:165], v[8:9], v[90:91], v[164:165] op_sel:[0,0,1] op_sel_hi:[0,1,0] neg_lo:[0,0,1] neg_hi:[0,0,1]
	v_pk_mul_f32 v[90:91], v[92:93], v[88:89] op_sel_hi:[0,1]
	v_pk_fma_f32 v[168:169], v[8:9], v[88:89], v[90:91] op_sel:[0,0,1] op_sel_hi:[1,1,0]
	v_pk_fma_f32 v[170:171], v[8:9], v[88:89], v[90:91] op_sel:[0,0,1] op_sel_hi:[0,1,0] neg_lo:[0,0,1] neg_hi:[0,0,1]
	ds_read2st64_b64 v[88:91], v103 offset0:20 offset1:22
	s_waitcnt lgkmcnt(1)
	v_pk_mul_f32 v[172:173], v[6:7], v[128:129] op_sel:[1,0]
	v_mov_b32_e32 v169, v171
	v_pk_fma_f32 v[174:175], v[6:7], v[128:129], v[172:173] op_sel:[0,0,1] op_sel_hi:[1,1,0]
	v_pk_fma_f32 v[172:173], v[6:7], v[128:129], v[172:173] op_sel:[0,0,1] op_sel_hi:[0,1,0] neg_lo:[0,0,1] neg_hi:[0,0,1]
	v_pk_mul_f32 v[128:129], v[6:7], v[126:127] op_sel:[1,0]
	s_waitcnt lgkmcnt(0)
	v_pk_mul_f32 v[180:181], v[92:93], v[90:91] op_sel_hi:[0,1]
	v_pk_fma_f32 v[176:177], v[6:7], v[126:127], v[128:129] op_sel:[0,0,1] op_sel_hi:[1,1,0]
	v_pk_fma_f32 v[178:179], v[6:7], v[126:127], v[128:129] op_sel:[0,0,1] op_sel_hi:[0,1,0] neg_lo:[0,0,1] neg_hi:[0,0,1]
	ds_read2st64_b64 v[126:129], v103 offset0:8 offset1:10
	v_pk_fma_f32 v[182:183], v[8:9], v[90:91], v[180:181] op_sel:[0,0,1] op_sel_hi:[1,1,0]
	v_pk_fma_f32 v[180:181], v[8:9], v[90:91], v[180:181] op_sel:[0,0,1] op_sel_hi:[0,1,0] neg_lo:[0,0,1] neg_hi:[0,0,1]
	v_pk_mul_f32 v[90:91], v[92:93], v[88:89] op_sel_hi:[0,1]
	v_pk_fma_f32 v[92:93], v[8:9], v[88:89], v[90:91] op_sel:[0,0,1] op_sel_hi:[1,1,0]
	v_pk_fma_f32 v[8:9], v[8:9], v[88:89], v[90:91] op_sel:[0,0,1] op_sel_hi:[0,1,0] neg_lo:[0,0,1] neg_hi:[0,0,1]
	ds_read2st64_b64 v[88:91], v103 offset1:2
	s_waitcnt lgkmcnt(1)
	v_pk_mul_f32 v[184:185], v[6:7], v[128:129] op_sel:[1,0]
	v_mov_b32_e32 v93, v9
	v_pk_fma_f32 v[186:187], v[6:7], v[128:129], v[184:185] op_sel:[0,0,1] op_sel_hi:[1,1,0]
	v_pk_fma_f32 v[6:7], v[6:7], v[128:129], v[184:185] op_sel:[0,0,1] op_sel_hi:[0,1,0] neg_lo:[0,0,1] neg_hi:[0,0,1]
	v_mov_b32_e32 v187, v7
	s_waitcnt lgkmcnt(0)
	v_pk_add_f32 v[8:9], v[88:89], v[92:93] neg_lo:[0,1] neg_hi:[0,1]
	v_pk_add_f32 v[4:5], v[186:187], v[152:153] neg_lo:[0,1] neg_hi:[0,1]
	v_mov_b32_e32 v183, v181
	v_pk_fma_f32 v[6:7], v[186:187], 2.0, v[4:5] op_sel_hi:[1,0,1] neg_lo:[0,0,1] neg_hi:[0,0,1]
	v_pk_add_f32 v[92:93], v[8:9], v[4:5] op_sel:[0,1] op_sel_hi:[1,0]
	v_pk_add_f32 v[4:5], v[8:9], v[4:5] op_sel:[0,1] op_sel_hi:[1,0] neg_lo:[0,1] neg_hi:[0,1]
	v_mov_b32_e32 v177, v179
	v_mov_b32_e32 v93, v5
	v_pk_fma_f32 v[4:5], v[88:89], 2.0, v[8:9] op_sel_hi:[1,0,1] neg_lo:[0,0,1] neg_hi:[0,0,1]
	v_pk_fma_f32 v[8:9], v[8:9], 2.0, v[92:93] op_sel_hi:[1,0,1] neg_lo:[0,0,1] neg_hi:[0,0,1]
	v_pk_add_f32 v[88:89], v[4:5], v[6:7] neg_lo:[0,1] neg_hi:[0,1]
	v_mov_b32_e32 v175, v173
	v_pk_fma_f32 v[128:129], v[4:5], 2.0, v[88:89] op_sel_hi:[1,0,1] neg_lo:[0,0,1] neg_hi:[0,0,1]
	ds_read2st64_b64 v[4:7], v103 offset0:4 offset1:6
	s_waitcnt lgkmcnt(0)
	s_barrier
	ds_write2_b64 v146, v[128:129], v[8:9] offset1:16
	ds_write2_b64 v146, v[88:89], v[92:93] offset0:32 offset1:48
	v_pk_add_f32 v[8:9], v[90:91], v[182:183] neg_lo:[0,1] neg_hi:[0,1]
	v_mov_b32_e32 v161, v163
	v_pk_fma_f32 v[88:89], v[90:91], 2.0, v[8:9] op_sel_hi:[1,0,1] neg_lo:[0,0,1] neg_hi:[0,0,1]
	v_pk_add_f32 v[90:91], v[176:177], v[140:141] neg_lo:[0,1] neg_hi:[0,1]
	v_mov_b32_e32 v167, v165
	v_pk_fma_f32 v[92:93], v[176:177], 2.0, v[90:91] op_sel_hi:[1,0,1] neg_lo:[0,0,1] neg_hi:[0,0,1]
	v_pk_add_f32 v[128:129], v[8:9], v[90:91] op_sel:[0,1] op_sel_hi:[1,0]
	v_pk_add_f32 v[90:91], v[8:9], v[90:91] op_sel:[0,1] op_sel_hi:[1,0] neg_lo:[0,1] neg_hi:[0,1]
	v_mov_b32_e32 v159, v157
	v_mov_b32_e32 v129, v91
	v_pk_add_f32 v[90:91], v[88:89], v[92:93] neg_lo:[0,1] neg_hi:[0,1]
	v_pk_fma_f32 v[8:9], v[8:9], 2.0, v[128:129] op_sel_hi:[1,0,1] neg_lo:[0,0,1] neg_hi:[0,0,1]
	v_pk_fma_f32 v[88:89], v[88:89], 2.0, v[90:91] op_sel_hi:[1,0,1] neg_lo:[0,0,1] neg_hi:[0,0,1]
	ds_write2_b64 v147, v[88:89], v[8:9] offset1:16
	ds_write2_b64 v147, v[90:91], v[128:129] offset0:32 offset1:48
	v_pk_add_f32 v[8:9], v[4:5], v[168:169] neg_lo:[0,1] neg_hi:[0,1]
	v_pk_add_f32 v[88:89], v[174:175], v[136:137] neg_lo:[0,1] neg_hi:[0,1]
	v_pk_fma_f32 v[4:5], v[4:5], 2.0, v[8:9] op_sel_hi:[1,0,1] neg_lo:[0,0,1] neg_hi:[0,0,1]
	v_pk_fma_f32 v[90:91], v[174:175], 2.0, v[88:89] op_sel_hi:[1,0,1] neg_lo:[0,0,1] neg_hi:[0,0,1]
	v_pk_add_f32 v[92:93], v[8:9], v[88:89] op_sel:[0,1] op_sel_hi:[1,0]
	v_pk_add_f32 v[88:89], v[8:9], v[88:89] op_sel:[0,1] op_sel_hi:[1,0] neg_lo:[0,1] neg_hi:[0,1]
	v_mov_b32_e32 v95, v155
	v_mov_b32_e32 v93, v89
	v_pk_add_f32 v[88:89], v[4:5], v[90:91] neg_lo:[0,1] neg_hi:[0,1]
	v_pk_fma_f32 v[8:9], v[8:9], 2.0, v[92:93] op_sel_hi:[1,0,1] neg_lo:[0,0,1] neg_hi:[0,0,1]
	v_pk_fma_f32 v[4:5], v[4:5], 2.0, v[88:89] op_sel_hi:[1,0,1] neg_lo:[0,0,1] neg_hi:[0,0,1]
	ds_write2_b64 v148, v[4:5], v[8:9] offset1:16
	ds_write2_b64 v148, v[88:89], v[92:93] offset0:32 offset1:48
	v_pk_add_f32 v[4:5], v[6:7], v[166:167] neg_lo:[0,1] neg_hi:[0,1]
	v_pk_add_f32 v[8:9], v[160:161], v[132:133] neg_lo:[0,1] neg_hi:[0,1]
	v_pk_fma_f32 v[6:7], v[6:7], 2.0, v[4:5] op_sel_hi:[1,0,1] neg_lo:[0,0,1] neg_hi:[0,0,1]
	v_pk_fma_f32 v[88:89], v[160:161], 2.0, v[8:9] op_sel_hi:[1,0,1] neg_lo:[0,0,1] neg_hi:[0,0,1]
	v_pk_add_f32 v[90:91], v[4:5], v[8:9] op_sel:[0,1] op_sel_hi:[1,0]
	v_pk_add_f32 v[8:9], v[4:5], v[8:9] op_sel:[0,1] op_sel_hi:[1,0] neg_lo:[0,1] neg_hi:[0,1]
	v_pk_add_f32 v[2:3], v[158:159], v[2:3] neg_lo:[0,1] neg_hi:[0,1]
	v_mov_b32_e32 v91, v9
	v_pk_add_f32 v[8:9], v[6:7], v[88:89] neg_lo:[0,1] neg_hi:[0,1]
	v_pk_fma_f32 v[4:5], v[4:5], 2.0, v[90:91] op_sel_hi:[1,0,1] neg_lo:[0,0,1] neg_hi:[0,0,1]
	v_pk_fma_f32 v[6:7], v[6:7], 2.0, v[8:9] op_sel_hi:[1,0,1] neg_lo:[0,0,1] neg_hi:[0,0,1]
	ds_write2_b64 v144, v[6:7], v[4:5] offset1:16
	ds_write2_b64 v144, v[8:9], v[90:91] offset0:32 offset1:48
	v_pk_add_f32 v[4:5], v[126:127], v[94:95] neg_lo:[0,1] neg_hi:[0,1]
	v_pk_fma_f32 v[8:9], v[158:159], 2.0, v[2:3] op_sel_hi:[1,0,1] neg_lo:[0,0,1] neg_hi:[0,0,1]
	v_pk_fma_f32 v[6:7], v[126:127], 2.0, v[4:5] op_sel_hi:[1,0,1] neg_lo:[0,0,1] neg_hi:[0,0,1]
	v_pk_add_f32 v[88:89], v[4:5], v[2:3] op_sel:[0,1] op_sel_hi:[1,0]
	v_pk_add_f32 v[2:3], v[4:5], v[2:3] op_sel:[0,1] op_sel_hi:[1,0] neg_lo:[0,1] neg_hi:[0,1]
	s_nop 0
	v_mov_b32_e32 v89, v3
	v_pk_add_f32 v[2:3], v[6:7], v[8:9] neg_lo:[0,1] neg_hi:[0,1]
	v_pk_fma_f32 v[4:5], v[4:5], 2.0, v[88:89] op_sel_hi:[1,0,1] neg_lo:[0,0,1] neg_hi:[0,0,1]
	v_pk_fma_f32 v[6:7], v[6:7], 2.0, v[2:3] op_sel_hi:[1,0,1] neg_lo:[0,0,1] neg_hi:[0,0,1]
	ds_write2_b64 v143, v[6:7], v[4:5] offset1:16
	ds_write2_b64 v143, v[2:3], v[88:89] offset0:32 offset1:48
	s_waitcnt lgkmcnt(0)
	s_barrier
	ds_read2st64_b64 v[6:9], v103 offset0:4 offset1:6
	ds_read2st64_b64 v[126:129], v103 offset0:8 offset1:10
	;; [unrolled: 1-line block ×4, first 2 shown]
	s_waitcnt lgkmcnt(3)
	v_pk_mul_f32 v[4:5], v[10:11], v[8:9] op_sel:[1,0]
	s_nop 0
	v_pk_fma_f32 v[2:3], v[10:11], v[8:9], v[4:5] op_sel:[0,0,1] op_sel_hi:[0,1,0]
	v_pk_fma_f32 v[4:5], v[10:11], v[8:9], v[4:5] op_sel:[0,0,1] op_sel_hi:[0,1,0] neg_lo:[0,0,1] neg_hi:[0,0,1]
	v_pk_mul_f32 v[8:9], v[10:11], v[6:7] op_sel:[1,0]
	s_nop 0
	v_pk_fma_f32 v[94:95], v[10:11], v[6:7], v[8:9] op_sel:[0,0,1] op_sel_hi:[0,1,0]
	v_pk_fma_f32 v[90:91], v[10:11], v[6:7], v[8:9] op_sel:[0,0,1] op_sel_hi:[0,1,0] neg_lo:[0,0,1] neg_hi:[0,0,1]
	s_waitcnt lgkmcnt(2)
	v_pk_mul_f32 v[8:9], v[112:113], v[128:129] op_sel_hi:[0,1]
	v_pk_fma_f32 v[6:7], v[12:13], v[128:129], v[8:9] op_sel:[0,0,1] op_sel_hi:[1,1,0]
	v_pk_fma_f32 v[88:89], v[12:13], v[128:129], v[8:9] op_sel:[0,0,1] op_sel_hi:[0,1,0] neg_lo:[0,0,1] neg_hi:[0,0,1]
	v_pk_mul_f32 v[8:9], v[112:113], v[126:127] op_sel_hi:[0,1]
	s_waitcnt lgkmcnt(1)
	v_pk_mul_f32 v[10:11], v[18:19], v[132:133] op_sel:[1,0]
	v_pk_fma_f32 v[112:113], v[12:13], v[126:127], v[8:9] op_sel:[0,0,1] op_sel_hi:[1,1,0]
	v_pk_fma_f32 v[138:139], v[12:13], v[126:127], v[8:9] op_sel:[0,0,1] op_sel_hi:[0,1,0] neg_lo:[0,0,1] neg_hi:[0,0,1]
	v_pk_fma_f32 v[8:9], v[18:19], v[132:133], v[10:11] op_sel:[0,0,1] op_sel_hi:[1,1,0]
	v_pk_fma_f32 v[128:129], v[18:19], v[132:133], v[10:11] op_sel:[0,0,1] op_sel_hi:[0,1,0] neg_lo:[0,0,1] neg_hi:[0,0,1]
	v_pk_mul_f32 v[10:11], v[18:19], v[130:131] op_sel:[1,0]
	s_waitcnt lgkmcnt(0)
	v_pk_mul_f32 v[12:13], v[108:109], v[136:137] op_sel_hi:[0,1]
	v_pk_fma_f32 v[126:127], v[18:19], v[130:131], v[10:11] op_sel:[0,0,1] op_sel_hi:[1,1,0]
	v_pk_fma_f32 v[140:141], v[18:19], v[130:131], v[10:11] op_sel:[0,0,1] op_sel_hi:[0,1,0] neg_lo:[0,0,1] neg_hi:[0,0,1]
	ds_read2st64_b64 v[130:133], v103 offset0:20 offset1:22
	v_pk_fma_f32 v[10:11], v[20:21], v[136:137], v[12:13] op_sel:[0,0,1] op_sel_hi:[1,1,0]
	v_pk_fma_f32 v[18:19], v[20:21], v[136:137], v[12:13] op_sel:[0,0,1] op_sel_hi:[0,1,0] neg_lo:[0,0,1] neg_hi:[0,0,1]
	v_pk_mul_f32 v[12:13], v[108:109], v[134:135] op_sel_hi:[0,1]
	v_pk_fma_f32 v[108:109], v[20:21], v[134:135], v[12:13] op_sel:[0,0,1] op_sel_hi:[1,1,0]
	v_pk_fma_f32 v[142:143], v[20:21], v[134:135], v[12:13] op_sel:[0,0,1] op_sel_hi:[0,1,0] neg_lo:[0,0,1] neg_hi:[0,0,1]
	s_waitcnt lgkmcnt(0)
	v_pk_mul_f32 v[12:13], v[14:15], v[132:133] op_sel:[1,0]
	ds_read2st64_b64 v[134:137], v103 offset0:24 offset1:26
	v_pk_fma_f32 v[20:21], v[14:15], v[132:133], v[12:13] op_sel:[0,0,1] op_sel_hi:[1,1,0]
	v_pk_fma_f32 v[144:145], v[14:15], v[132:133], v[12:13] op_sel:[0,0,1] op_sel_hi:[0,1,0] neg_lo:[0,0,1] neg_hi:[0,0,1]
	v_pk_mul_f32 v[12:13], v[14:15], v[130:131] op_sel:[1,0]
	v_mov_b32_e32 v113, v139
	v_pk_fma_f32 v[146:147], v[14:15], v[130:131], v[12:13] op_sel:[0,0,1] op_sel_hi:[1,1,0]
	v_pk_fma_f32 v[148:149], v[14:15], v[130:131], v[12:13] op_sel:[0,0,1] op_sel_hi:[0,1,0] neg_lo:[0,0,1] neg_hi:[0,0,1]
	ds_read2st64_b64 v[130:133], v103 offset0:28 offset1:30
	s_waitcnt lgkmcnt(1)
	v_pk_mul_f32 v[14:15], v[104:105], v[136:137] op_sel_hi:[0,1]
	v_pk_fma_f32 v[12:13], v[16:17], v[136:137], v[14:15] op_sel:[0,0,1] op_sel_hi:[1,1,0]
	v_pk_fma_f32 v[92:93], v[16:17], v[136:137], v[14:15] op_sel:[0,0,1] op_sel_hi:[0,1,0] neg_lo:[0,0,1] neg_hi:[0,0,1]
	v_pk_mul_f32 v[14:15], v[104:105], v[134:135] op_sel_hi:[0,1]
	v_pk_fma_f32 v[150:151], v[16:17], v[134:135], v[14:15] op_sel:[0,0,1] op_sel_hi:[1,1,0]
	v_pk_fma_f32 v[152:153], v[16:17], v[134:135], v[14:15] op_sel:[0,0,1] op_sel_hi:[0,1,0] neg_lo:[0,0,1] neg_hi:[0,0,1]
	s_waitcnt lgkmcnt(0)
	v_pk_mul_f32 v[14:15], v[22:23], v[132:133] op_sel:[1,0]
	ds_read2st64_b64 v[134:137], v103 offset0:32 offset1:34
	v_pk_fma_f32 v[104:105], v[22:23], v[132:133], v[14:15] op_sel:[0,0,1] op_sel_hi:[1,1,0]
	v_pk_fma_f32 v[154:155], v[22:23], v[132:133], v[14:15] op_sel:[0,0,1] op_sel_hi:[0,1,0] neg_lo:[0,0,1] neg_hi:[0,0,1]
	v_pk_mul_f32 v[14:15], v[22:23], v[130:131] op_sel:[1,0]
	v_mov_b32_e32 v138, v146
	v_pk_fma_f32 v[156:157], v[22:23], v[130:131], v[14:15] op_sel:[0,0,1] op_sel_hi:[1,1,0]
	v_pk_fma_f32 v[158:159], v[22:23], v[130:131], v[14:15] op_sel:[0,0,1] op_sel_hi:[0,1,0] neg_lo:[0,0,1] neg_hi:[0,0,1]
	ds_read2st64_b64 v[130:133], v103 offset0:36 offset1:38
	s_waitcnt lgkmcnt(1)
	v_pk_mul_f32 v[16:17], v[102:103], v[136:137] op_sel_hi:[0,1]
	v_pk_fma_f32 v[14:15], v[24:25], v[136:137], v[16:17] op_sel:[0,0,1] op_sel_hi:[1,1,0]
	v_pk_fma_f32 v[22:23], v[24:25], v[136:137], v[16:17] op_sel:[0,0,1] op_sel_hi:[0,1,0] neg_lo:[0,0,1] neg_hi:[0,0,1]
	v_pk_mul_f32 v[16:17], v[102:103], v[134:135] op_sel_hi:[0,1]
	v_pk_fma_f32 v[136:137], v[24:25], v[134:135], v[16:17] op_sel:[0,0,1] op_sel_hi:[1,1,0]
	v_pk_fma_f32 v[24:25], v[24:25], v[134:135], v[16:17] op_sel:[0,0,1] op_sel_hi:[0,1,0] neg_lo:[0,0,1] neg_hi:[0,0,1]
	s_waitcnt lgkmcnt(0)
	v_pk_mul_f32 v[134:135], v[96:97], v[132:133] op_sel:[1,0]
	v_mov_b32_e32 v137, v25
	v_pk_fma_f32 v[16:17], v[96:97], v[132:133], v[134:135] op_sel:[0,0,1] op_sel_hi:[1,1,0]
	v_pk_fma_f32 v[134:135], v[96:97], v[132:133], v[134:135] op_sel:[0,0,1] op_sel_hi:[0,1,0] neg_lo:[0,0,1] neg_hi:[0,0,1]
	v_pk_mul_f32 v[132:133], v[96:97], v[130:131] op_sel:[1,0]
	v_mov_b32_e32 v24, v126
	v_pk_fma_f32 v[160:161], v[96:97], v[130:131], v[132:133] op_sel:[0,0,1] op_sel_hi:[1,1,0]
	v_mov_b32_e32 v139, v156
	v_mov_b32_e32 v25, v160
	v_pk_fma_f32 v[96:97], v[96:97], v[130:131], v[132:133] op_sel:[0,0,1] op_sel_hi:[0,1,0] neg_lo:[0,0,1] neg_hi:[0,0,1]
	v_pk_add_f32 v[130:131], v[24:25], v[138:139] neg_lo:[0,1] neg_hi:[0,1]
	v_mov_b32_e32 v95, v91
	v_mov_b32_e32 v4, v131
	;; [unrolled: 1-line block ×4, first 2 shown]
	v_pk_add_f32 v[142:143], v[130:131], v[4:5]
	v_mov_b32_e32 v147, v149
	v_pk_add_f32 v[130:131], v[94:95], v[126:127]
	v_mov_b32_e32 v157, v159
	;; [unrolled: 2-line block ×3, first 2 shown]
	v_mov_b32_e32 v158, v149
	v_mov_b32_e32 v151, v153
	v_pk_add_f32 v[152:153], v[146:147], v[156:157]
	v_pk_add_f32 v[146:147], v[146:147], v[156:157] neg_lo:[0,1] neg_hi:[0,1]
	v_pk_add_f32 v[156:157], v[130:131], v[156:157]
	v_pk_add_f32 v[130:131], v[96:97], v[158:159] neg_lo:[0,1] neg_hi:[0,1]
	v_mov_b32_e32 v161, v97
	v_mov_b32_e32 v4, v131
	v_pk_add_f32 v[140:141], v[130:131], v[4:5]
	ds_read2st64_b64 v[130:133], v103 offset1:2
	v_pk_add_f32 v[148:149], v[112:113], v[108:109] neg_lo:[0,1] neg_hi:[0,1]
	v_pk_add_f32 v[162:163], v[136:137], v[150:151] neg_lo:[0,1] neg_hi:[0,1]
	v_fma_f32 v1, -0.5, v152, v94
	v_fma_f32 v3, -0.5, v153, v91
	v_mov_b32_e32 v143, v147
	v_pk_add_f32 v[152:153], v[126:127], v[160:161] neg_lo:[0,1] neg_hi:[0,1]
	v_pk_add_f32 v[148:149], v[148:149], v[162:163]
	v_pk_add_f32 v[162:163], v[108:109], v[150:151]
	v_pk_add_f32 v[164:165], v[112:113], v[136:137] neg_lo:[0,1] neg_hi:[0,1]
	v_pk_mul_f32 v[142:143], v[142:143], s[12:13]
	v_fmamk_f32 v4, v153, 0xbf737871, v1
	v_mov_b32_e32 v141, v146
	s_waitcnt lgkmcnt(0)
	v_pk_fma_f32 v[162:163], v[162:163], 0.5, v[130:131] op_sel_hi:[1,0,1] neg_lo:[1,0,0] neg_hi:[1,0,0]
	v_pk_mul_f32 v[166:167], v[164:165], s[8:9] op_sel_hi:[1,0]
	v_sub_f32_e32 v7, v4, v143
	v_pk_mul_f32 v[140:141], v[140:141], s[12:13]
	v_fmamk_f32 v4, v152, 0x3f737871, v3
	v_pk_add_f32 v[168:169], v[162:163], v[166:167] op_sel:[0,1] op_sel_hi:[1,0] neg_lo:[0,1] neg_hi:[0,1]
	v_pk_add_f32 v[162:163], v[162:163], v[166:167] op_sel:[0,1] op_sel_hi:[1,0]
	v_pk_add_f32 v[166:167], v[108:109], v[150:151] neg_lo:[0,1] neg_hi:[0,1]
	v_add_f32_e32 v4, v141, v4
	v_pk_mul_f32 v[170:171], v[166:167], s[2:3] op_sel_hi:[1,0]
	s_mov_b32 s3, s14
	v_add_f32_e32 v4, v140, v4
	v_pk_add_f32 v[162:163], v[162:163], v[170:171] op_sel:[0,1] op_sel_hi:[1,0]
	v_pk_add_f32 v[168:169], v[168:169], v[170:171] op_sel:[0,1] op_sel_hi:[1,0] neg_lo:[0,1] neg_hi:[0,1]
	v_pk_mul_f32 v[170:171], v[4:5], s[2:3] op_sel_hi:[0,1]
	v_add_f32_e32 v4, v142, v7
	v_pk_fma_f32 v[172:173], v[4:5], s[14:15], v[170:171] neg_lo:[0,0,1] neg_hi:[0,0,1]
	v_pk_fma_f32 v[170:171], v[4:5], s[14:15], v[170:171] op_sel_hi:[0,1,1]
	v_mov_b32_e32 v173, v171
	v_pk_add_f32 v[170:171], v[130:131], v[112:113]
	v_mov_b32_e32 v174, v168
	v_pk_add_f32 v[170:171], v[170:171], v[108:109]
	;; [unrolled: 2-line block ×3, first 2 shown]
	v_pk_add_f32 v[156:157], v[156:157], v[160:161]
	v_pk_add_f32 v[170:171], v[170:171], v[136:137]
	v_pk_fma_f32 v[174:175], v[148:149], s[12:13], v[174:175] op_sel_hi:[1,0,1]
	v_pk_add_f32 v[176:177], v[170:171], v[156:157]
	v_pk_add_f32 v[178:179], v[174:175], v[172:173]
	s_barrier
	ds_write2st64_b64 v119, v[176:177], v[178:179] offset1:1
	v_mov_b32_e32 v176, v8
	v_mov_b32_e32 v177, v16
	;; [unrolled: 1-line block ×4, first 2 shown]
	v_pk_add_f32 v[180:181], v[176:177], v[178:179] neg_lo:[0,1] neg_hi:[0,1]
	v_pk_add_f32 v[176:177], v[178:179], v[176:177] neg_lo:[0,1] neg_hi:[0,1]
	v_mov_b32_e32 v4, v181
	v_mov_b32_e32 v134, v129
	v_mov_b32_e32 v154, v145
	v_pk_add_f32 v[180:181], v[180:181], v[4:5]
	v_mov_b32_e32 v4, v177
	v_mov_b32_e32 v9, v129
	v_pk_add_f32 v[128:129], v[134:135], v[154:155] neg_lo:[0,1] neg_hi:[0,1]
	v_pk_add_f32 v[176:177], v[176:177], v[4:5]
	v_mov_b32_e32 v4, v129
	v_mov_b32_e32 v17, v135
	v_pk_add_f32 v[134:135], v[154:155], v[134:135] neg_lo:[0,1] neg_hi:[0,1]
	v_pk_add_f32 v[128:129], v[128:129], v[4:5]
	v_mov_b32_e32 v4, v135
	v_pk_add_f32 v[24:25], v[138:139], v[24:25] neg_lo:[0,1] neg_hi:[0,1]
	v_pk_add_f32 v[134:135], v[134:135], v[4:5]
	v_mov_b32_e32 v4, v25
	v_mov_b32_e32 v7, v94
	v_pk_add_f32 v[94:95], v[158:159], v[96:97] neg_lo:[0,1] neg_hi:[0,1]
	v_pk_add_f32 v[24:25], v[24:25], v[4:5]
	v_mov_b32_e32 v4, v95
	v_pk_add_f32 v[126:127], v[126:127], v[160:161]
	v_pk_add_f32 v[94:95], v[94:95], v[4:5]
	v_fmac_f32_e32 v7, -0.5, v126
	v_fmac_f32_e32 v91, -0.5, v127
	v_mov_b32_e32 v25, v153
	v_mov_b32_e32 v95, v152
	;; [unrolled: 1-line block ×4, first 2 shown]
	v_fmamk_f32 v4, v147, 0x3f737871, v7
	v_fmamk_f32 v11, v146, 0xbf737871, v91
	v_pk_add_f32 v[96:97], v[108:109], v[112:113] neg_lo:[0,1] neg_hi:[0,1]
	v_pk_add_f32 v[108:109], v[112:113], v[136:137]
	v_pk_add_f32 v[112:113], v[150:151], v[136:137] neg_lo:[0,1] neg_hi:[0,1]
	v_pk_mul_f32 v[24:25], v[24:25], s[12:13]
	v_pk_mul_f32 v[94:95], v[94:95], s[12:13]
	v_pk_add_f32 v[96:97], v[96:97], v[112:113]
	v_pk_add_f32 v[112:113], v[20:21], v[104:105] neg_lo:[0,1] neg_hi:[0,1]
	v_pk_add_f32 v[136:137], v[8:9], v[16:17] neg_lo:[0,1] neg_hi:[0,1]
	v_sub_f32_e32 v13, v4, v25
	v_add_f32_e32 v4, v95, v11
	v_mov_b32_e32 v181, v113
	v_mov_b32_e32 v177, v137
	;; [unrolled: 1-line block ×4, first 2 shown]
	s_mov_b32 s9, s12
	v_add_f32_e32 v4, v94, v4
	v_pk_mul_f32 v[126:127], v[180:181], s[12:13]
	v_pk_mul_f32 v[138:139], v[176:177], s[12:13]
	;; [unrolled: 1-line block ×4, first 2 shown]
	s_mov_b32 s13, s8
	v_pk_mul_f32 v[144:145], v[4:5], s[8:9] op_sel_hi:[0,1]
	v_add_f32_e32 v4, v24, v13
	v_fmac_f32_e32 v7, 0xbf737871, v147
	v_fmac_f32_e32 v91, 0x3f737871, v146
	v_pk_fma_f32 v[146:147], v[4:5], s[12:13], v[144:145] neg_lo:[0,0,1] neg_hi:[0,0,1]
	v_pk_fma_f32 v[144:145], v[4:5], s[12:13], v[144:145] op_sel_hi:[0,1,1]
	v_pk_fma_f32 v[108:109], v[108:109], 0.5, v[130:131] op_sel_hi:[1,0,1] neg_lo:[1,0,0] neg_hi:[1,0,0]
	v_pk_mul_f32 v[130:131], v[166:167], s[8:9] op_sel_hi:[1,0]
	v_mov_b32_e32 v147, v145
	v_pk_add_f32 v[144:145], v[108:109], v[130:131] op_sel:[0,1] op_sel_hi:[1,0]
	v_pk_add_f32 v[108:109], v[108:109], v[130:131] op_sel:[0,1] op_sel_hi:[1,0] neg_lo:[0,1] neg_hi:[0,1]
	v_pk_mul_f32 v[130:131], v[164:165], s[2:3] op_sel_hi:[1,0]
	v_add_f32_e32 v4, v25, v7
	v_sub_f32_e32 v7, v91, v95
	v_pk_add_f32 v[108:109], v[108:109], v[130:131] op_sel:[0,1] op_sel_hi:[1,0]
	v_pk_add_f32 v[130:131], v[144:145], v[130:131] op_sel:[0,1] op_sel_hi:[1,0] neg_lo:[0,1] neg_hi:[0,1]
	v_add_f32_e32 v18, v94, v7
	v_fmac_f32_e32 v1, 0x3f737871, v153
	v_add_f32_e32 v4, v24, v4
	v_pk_mul_f32 v[24:25], v[18:19], s[8:9] op_sel_hi:[0,1]
	v_mov_b32_e32 v90, v130
	v_mov_b32_e32 v91, v109
	;; [unrolled: 1-line block ×3, first 2 shown]
	v_fmac_f32_e32 v3, 0xbf737871, v152
	v_add_f32_e32 v1, v143, v1
	v_pk_fma_f32 v[24:25], v[4:5], s[10:11], v[24:25] op_sel_hi:[0,1,1] neg_lo:[0,0,1] neg_hi:[0,0,1]
	v_pk_fma_f32 v[90:91], v[96:97], s[12:13], v[90:91] op_sel_hi:[1,0,1]
	v_pk_fma_f32 v[94:95], v[96:97], s[12:13], v[108:109] op_sel_hi:[1,0,1]
	v_add_f32_e32 v4, v142, v1
	v_sub_f32_e32 v1, v3, v141
	v_pk_add_f32 v[96:97], v[90:91], v[146:147]
	v_pk_add_f32 v[108:109], v[94:95], v[24:25]
	v_add_f32_e32 v18, v140, v1
	ds_write2st64_b64 v119, v[96:97], v[108:109] offset0:2 offset1:3
	v_pk_mul_f32 v[96:97], v[18:19], s[2:3] op_sel_hi:[0,1]
	v_mov_b32_e32 v163, v169
	v_pk_fma_f32 v[96:97], v[4:5], s[16:17], v[96:97] op_sel_hi:[0,1,1] neg_lo:[0,0,1] neg_hi:[0,0,1]
	v_pk_fma_f32 v[108:109], v[148:149], s[12:13], v[162:163] op_sel_hi:[1,0,1]
	v_pk_add_f32 v[130:131], v[170:171], v[156:157] neg_lo:[0,1] neg_hi:[0,1]
	v_pk_add_f32 v[140:141], v[108:109], v[96:97]
	v_mov_b32_e32 v3, v5
	ds_write2st64_b64 v119, v[140:141], v[130:131] offset0:4 offset1:5
	v_pk_add_f32 v[130:131], v[174:175], v[172:173] neg_lo:[0,1] neg_hi:[0,1]
	v_pk_add_f32 v[90:91], v[90:91], v[146:147] neg_lo:[0,1] neg_hi:[0,1]
	v_mov_b32_e32 v11, v19
	v_pk_add_f32 v[18:19], v[2:3], v[8:9]
	ds_write2st64_b64 v119, v[130:131], v[90:91] offset0:6 offset1:7
	v_pk_add_f32 v[24:25], v[94:95], v[24:25] neg_lo:[0,1] neg_hi:[0,1]
	v_pk_add_f32 v[90:91], v[108:109], v[96:97] neg_lo:[0,1] neg_hi:[0,1]
	v_mov_b32_e32 v7, v89
	v_mov_b32_e32 v13, v93
	v_mov_b32_e32 v15, v23
	v_pk_add_f32 v[18:19], v[18:19], v[20:21]
	v_pk_add_f32 v[20:21], v[20:21], v[104:105]
	ds_write2st64_b64 v119, v[24:25], v[90:91] offset0:8 offset1:9
	v_pk_add_f32 v[22:23], v[6:7], v[10:11] neg_lo:[0,1] neg_hi:[0,1]
	v_pk_add_f32 v[24:25], v[14:15], v[12:13] neg_lo:[0,1] neg_hi:[0,1]
	v_fma_f32 v29, -0.5, v21, v5
	v_pk_add_f32 v[22:23], v[22:23], v[24:25]
	v_pk_add_f32 v[24:25], v[10:11], v[12:13]
	v_pk_add_f32 v[88:89], v[6:7], v[14:15] neg_lo:[0,1] neg_hi:[0,1]
	v_fma_f32 v1, -0.5, v20, v2
	v_fmamk_f32 v4, v136, 0x3f737871, v29
	v_pk_fma_f32 v[24:25], v[24:25], 0.5, v[132:133] op_sel_hi:[1,0,1] neg_lo:[1,0,0] neg_hi:[1,0,0]
	v_pk_mul_f32 v[90:91], v[88:89], s[8:9] op_sel_hi:[1,0]
	v_fmamk_f32 v3, v137, 0xbf737871, v1
	v_add_f32_e32 v4, v129, v4
	v_pk_add_f32 v[92:93], v[24:25], v[90:91] op_sel:[0,1] op_sel_hi:[1,0] neg_lo:[0,1] neg_hi:[0,1]
	v_pk_add_f32 v[24:25], v[24:25], v[90:91] op_sel:[0,1] op_sel_hi:[1,0]
	v_pk_add_f32 v[90:91], v[10:11], v[12:13] neg_lo:[0,1] neg_hi:[0,1]
	v_sub_f32_e32 v3, v3, v127
	v_add_f32_e32 v4, v128, v4
	v_pk_mul_f32 v[94:95], v[90:91], s[2:3] op_sel_hi:[1,0]
	v_pk_mul_f32 v[20:21], v[4:5], s[2:3] op_sel_hi:[0,1]
	v_add_f32_e32 v4, v126, v3
	v_pk_add_f32 v[18:19], v[18:19], v[104:105]
	v_pk_add_f32 v[24:25], v[24:25], v[94:95] op_sel:[0,1] op_sel_hi:[1,0]
	v_pk_add_f32 v[92:93], v[92:93], v[94:95] op_sel:[0,1] op_sel_hi:[1,0] neg_lo:[0,1] neg_hi:[0,1]
	v_pk_fma_f32 v[94:95], v[4:5], s[14:15], v[20:21] neg_lo:[0,0,1] neg_hi:[0,0,1]
	v_pk_fma_f32 v[20:21], v[4:5], s[14:15], v[20:21] op_sel_hi:[0,1,1]
	v_mov_b32_e32 v95, v21
	v_pk_add_f32 v[20:21], v[132:133], v[6:7]
	v_pk_add_f32 v[18:19], v[18:19], v[16:17]
	;; [unrolled: 1-line block ×3, first 2 shown]
	v_mov_b32_e32 v16, v2
	v_pk_add_f32 v[20:21], v[20:21], v[10:11]
	v_fmac_f32_e32 v1, 0x3f737871, v137
	v_fmac_f32_e32 v16, -0.5, v8
	v_pk_add_f32 v[20:21], v[20:21], v[12:13]
	v_mov_b32_e32 v96, v92
	v_mov_b32_e32 v97, v25
	v_fmamk_f32 v8, v113, 0x3f737871, v16
	v_add_f32_e32 v1, v127, v1
	v_pk_add_f32 v[20:21], v[20:21], v[14:15]
	v_pk_fma_f32 v[96:97], v[22:23], s[12:13], v[96:97] op_sel_hi:[1,0,1]
	v_fmac_f32_e32 v29, 0xbf737871, v136
	v_fmac_f32_e32 v5, -0.5, v9
	v_add_f32_e32 v4, v126, v1
	v_sub_f32_e32 v1, v8, v139
	v_pk_add_f32 v[104:105], v[20:21], v[18:19]
	v_pk_add_f32 v[108:109], v[96:97], v[94:95]
	v_fmamk_f32 v9, v112, 0xbf737871, v5
	v_add_f32_e32 v8, v138, v1
	v_sub_f32_e32 v1, v29, v129
	ds_write2st64_b64 v121, v[104:105], v[108:109] offset1:1
	v_pk_add_f32 v[104:105], v[6:7], v[14:15]
	v_pk_add_f32 v[2:3], v[10:11], v[6:7] neg_lo:[0,1] neg_hi:[0,1]
	v_pk_add_f32 v[6:7], v[12:13], v[14:15] neg_lo:[0,1] neg_hi:[0,1]
	v_add_f32_e32 v12, v128, v1
	v_add_f32_e32 v1, v135, v9
	;; [unrolled: 1-line block ×3, first 2 shown]
	v_pk_add_f32 v[2:3], v[2:3], v[6:7]
	v_pk_mul_f32 v[6:7], v[14:15], s[8:9] op_sel_hi:[0,1]
	v_pk_fma_f32 v[104:105], v[104:105], 0.5, v[132:133] op_sel_hi:[1,0,1] neg_lo:[1,0,0] neg_hi:[1,0,0]
	v_fmac_f32_e32 v16, 0xbf737871, v113
	v_fmac_f32_e32 v5, 0x3f737871, v112
	v_pk_fma_f32 v[14:15], v[8:9], s[12:13], v[6:7] neg_lo:[0,0,1] neg_hi:[0,0,1]
	v_pk_fma_f32 v[6:7], v[8:9], s[12:13], v[6:7] op_sel_hi:[0,1,1]
	v_pk_mul_f32 v[8:9], v[90:91], s[8:9] op_sel_hi:[1,0]
	v_add_f32_e32 v10, v139, v16
	v_sub_f32_e32 v5, v5, v135
	v_pk_mul_f32 v[16:17], v[88:89], s[2:3] op_sel_hi:[1,0]
	v_pk_add_f32 v[88:89], v[104:105], v[8:9] op_sel:[0,1] op_sel_hi:[1,0]
	v_pk_add_f32 v[8:9], v[104:105], v[8:9] op_sel:[0,1] op_sel_hi:[1,0] neg_lo:[0,1] neg_hi:[0,1]
	v_add_f32_e32 v6, v134, v5
	v_pk_add_f32 v[8:9], v[8:9], v[16:17] op_sel:[0,1] op_sel_hi:[1,0]
	v_pk_add_f32 v[16:17], v[88:89], v[16:17] op_sel:[0,1] op_sel_hi:[1,0] neg_lo:[0,1] neg_hi:[0,1]
	v_add_f32_e32 v10, v138, v10
	v_mov_b32_e32 v15, v7
	v_mov_b32_e32 v88, v16
	;; [unrolled: 1-line block ×3, first 2 shown]
	v_pk_mul_f32 v[6:7], v[6:7], s[8:9] op_sel_hi:[0,1]
	v_mov_b32_e32 v9, v17
	v_pk_fma_f32 v[88:89], v[2:3], s[12:13], v[88:89] op_sel_hi:[1,0,1]
	v_pk_fma_f32 v[6:7], v[10:11], s[10:11], v[6:7] op_sel_hi:[0,1,1] neg_lo:[0,0,1] neg_hi:[0,0,1]
	v_pk_fma_f32 v[2:3], v[2:3], s[12:13], v[8:9] op_sel_hi:[1,0,1]
	v_pk_add_f32 v[90:91], v[88:89], v[14:15]
	v_pk_add_f32 v[8:9], v[2:3], v[6:7]
	ds_write2st64_b64 v121, v[90:91], v[8:9] offset0:2 offset1:3
	v_pk_mul_f32 v[8:9], v[12:13], s[2:3] op_sel_hi:[0,1]
	v_mov_b32_e32 v25, v93
	v_pk_fma_f32 v[4:5], v[4:5], s[16:17], v[8:9] op_sel_hi:[0,1,1] neg_lo:[0,0,1] neg_hi:[0,0,1]
	v_pk_fma_f32 v[8:9], v[22:23], s[12:13], v[24:25] op_sel_hi:[1,0,1]
	v_pk_add_f32 v[12:13], v[20:21], v[18:19] neg_lo:[0,1] neg_hi:[0,1]
	v_pk_add_f32 v[10:11], v[8:9], v[4:5]
	ds_write2st64_b64 v121, v[10:11], v[12:13] offset0:4 offset1:5
	v_pk_add_f32 v[10:11], v[96:97], v[94:95] neg_lo:[0,1] neg_hi:[0,1]
	v_pk_add_f32 v[12:13], v[88:89], v[14:15] neg_lo:[0,1] neg_hi:[0,1]
	;; [unrolled: 1-line block ×4, first 2 shown]
	ds_write2st64_b64 v121, v[10:11], v[12:13] offset0:6 offset1:7
	ds_write2st64_b64 v121, v[2:3], v[4:5] offset0:8 offset1:9
	s_waitcnt lgkmcnt(0)
	s_barrier
	ds_read2st64_b64 v[2:5], v103 offset0:8 offset1:10
	ds_read2st64_b64 v[6:9], v103 offset1:2
	ds_read2st64_b64 v[10:13], v103 offset0:20 offset1:22
	ds_read2st64_b64 v[14:17], v103 offset0:28 offset1:30
	v_mov_b32_e32 v108, s0
	v_mov_b32_e32 v109, s1
	v_mad_u64_u32 v[24:25], s[0:1], s6, v68, 0
	s_waitcnt lgkmcnt(3)
	v_pk_mul_f32 v[18:19], v[26:27], v[4:5] op_sel:[1,0]
	s_nop 0
	v_pk_fma_f32 v[20:21], v[26:27], v[4:5], v[18:19] op_sel:[0,0,1] op_sel_hi:[1,1,0]
	v_pk_fma_f32 v[4:5], v[26:27], v[4:5], v[18:19] op_sel:[0,0,1] op_sel_hi:[0,1,0] neg_lo:[0,0,1] neg_hi:[0,0,1]
	v_mov_b32_e32 v21, v5
	s_waitcnt lgkmcnt(1)
	v_pk_mul_f32 v[4:5], v[114:115], v[10:11] op_sel_hi:[0,1]
	v_pk_fma_f32 v[18:19], v[28:29], v[10:11], v[4:5] op_sel:[0,0,1] op_sel_hi:[1,1,0]
	v_pk_fma_f32 v[4:5], v[28:29], v[10:11], v[4:5] op_sel:[0,0,1] op_sel_hi:[0,1,0] neg_lo:[0,0,1] neg_hi:[0,0,1]
	v_mov_b32_e32 v19, v5
	s_waitcnt lgkmcnt(0)
	v_pk_mul_f32 v[4:5], v[100:101], v[16:17] op_sel:[1,0]
	s_nop 0
	v_pk_fma_f32 v[10:11], v[100:101], v[16:17], v[4:5] op_sel:[0,0,1] op_sel_hi:[1,1,0]
	v_pk_fma_f32 v[4:5], v[100:101], v[16:17], v[4:5] op_sel:[0,0,1] op_sel_hi:[0,1,0] neg_lo:[0,0,1] neg_hi:[0,0,1]
	v_mov_b32_e32 v11, v5
	v_pk_add_f32 v[16:17], v[6:7], v[18:19] neg_lo:[0,1] neg_hi:[0,1]
	v_pk_add_f32 v[10:11], v[20:21], v[10:11] neg_lo:[0,1] neg_hi:[0,1]
	v_pk_fma_f32 v[4:5], v[6:7], 2.0, v[16:17] op_sel_hi:[1,0,1] neg_lo:[0,0,1] neg_hi:[0,0,1]
	v_pk_fma_f32 v[6:7], v[20:21], 2.0, v[10:11] op_sel_hi:[1,0,1] neg_lo:[0,0,1] neg_hi:[0,0,1]
	v_pk_add_f32 v[26:27], v[16:17], v[10:11] op_sel:[0,1] op_sel_hi:[1,0]
	v_pk_add_f32 v[20:21], v[4:5], v[6:7] neg_lo:[0,1] neg_hi:[0,1]
	v_pk_add_f32 v[10:11], v[16:17], v[10:11] op_sel:[0,1] op_sel_hi:[1,0] neg_lo:[0,1] neg_hi:[0,1]
	v_pk_fma_f32 v[22:23], v[4:5], 2.0, v[20:21] op_sel_hi:[1,0,1] neg_lo:[0,0,1] neg_hi:[0,0,1]
	ds_read2st64_b64 v[4:7], v103 offset0:12 offset1:14
	v_mov_b32_e32 v27, v11
	v_pk_fma_f32 v[28:29], v[16:17], 2.0, v[26:27] op_sel_hi:[1,0,1] neg_lo:[0,0,1] neg_hi:[0,0,1]
	ds_read2st64_b64 v[16:19], v103 offset0:32 offset1:34
	s_waitcnt lgkmcnt(1)
	v_pk_mul_f32 v[10:11], v[30:31], v[4:5] op_sel:[1,0]
	s_nop 0
	v_pk_fma_f32 v[88:89], v[30:31], v[4:5], v[10:11] op_sel:[0,0,1] op_sel_hi:[1,1,0]
	v_pk_fma_f32 v[4:5], v[30:31], v[4:5], v[10:11] op_sel:[0,0,1] op_sel_hi:[0,1,0] neg_lo:[0,0,1] neg_hi:[0,0,1]
	v_mov_b32_e32 v89, v5
	v_pk_mul_f32 v[4:5], v[118:119], v[12:13] op_sel_hi:[0,1]
	v_pk_fma_f32 v[10:11], v[32:33], v[12:13], v[4:5] op_sel:[0,0,1] op_sel_hi:[1,1,0]
	v_pk_fma_f32 v[4:5], v[32:33], v[12:13], v[4:5] op_sel:[0,0,1] op_sel_hi:[0,1,0] neg_lo:[0,0,1] neg_hi:[0,0,1]
	v_mov_b32_e32 v11, v5
	s_waitcnt lgkmcnt(0)
	v_pk_mul_f32 v[4:5], v[98:99], v[16:17] op_sel:[1,0]
	s_nop 0
	v_pk_fma_f32 v[12:13], v[98:99], v[16:17], v[4:5] op_sel:[0,0,1] op_sel_hi:[1,1,0]
	v_pk_fma_f32 v[4:5], v[98:99], v[16:17], v[4:5] op_sel:[0,0,1] op_sel_hi:[0,1,0] neg_lo:[0,0,1] neg_hi:[0,0,1]
	v_mov_b32_e32 v13, v5
	v_pk_add_f32 v[4:5], v[8:9], v[10:11] neg_lo:[0,1] neg_hi:[0,1]
	v_pk_add_f32 v[10:11], v[88:89], v[12:13] neg_lo:[0,1] neg_hi:[0,1]
	v_pk_fma_f32 v[8:9], v[8:9], 2.0, v[4:5] op_sel_hi:[1,0,1] neg_lo:[0,0,1] neg_hi:[0,0,1]
	v_pk_fma_f32 v[12:13], v[88:89], 2.0, v[10:11] op_sel_hi:[1,0,1] neg_lo:[0,0,1] neg_hi:[0,0,1]
	v_pk_add_f32 v[16:17], v[4:5], v[10:11] op_sel:[0,1] op_sel_hi:[1,0]
	v_pk_add_f32 v[12:13], v[8:9], v[12:13] neg_lo:[0,1] neg_hi:[0,1]
	ds_write2st64_b64 v103, v[20:21], v[12:13] offset0:20 offset1:22
	v_pk_fma_f32 v[8:9], v[8:9], 2.0, v[12:13] op_sel_hi:[1,0,1] neg_lo:[0,0,1] neg_hi:[0,0,1]
	ds_write2st64_b64 v103, v[22:23], v[8:9] offset1:2
	v_pk_add_f32 v[8:9], v[4:5], v[10:11] op_sel:[0,1] op_sel_hi:[1,0] neg_lo:[0,1] neg_hi:[0,1]
	s_nop 0
	v_mov_b32_e32 v17, v9
	ds_read2st64_b64 v[8:11], v103 offset0:4 offset1:6
	ds_read2st64_b64 v[20:23], v103 offset0:24 offset1:26
	v_pk_fma_f32 v[30:31], v[4:5], 2.0, v[16:17] op_sel_hi:[1,0,1] neg_lo:[0,0,1] neg_hi:[0,0,1]
	v_pk_mul_f32 v[4:5], v[34:35], v[6:7] op_sel:[1,0]
	s_nop 0
	v_pk_fma_f32 v[12:13], v[34:35], v[6:7], v[4:5] op_sel:[0,0,1] op_sel_hi:[1,1,0]
	v_pk_fma_f32 v[4:5], v[34:35], v[6:7], v[4:5] op_sel:[0,0,1] op_sel_hi:[0,1,0] neg_lo:[0,0,1] neg_hi:[0,0,1]
	v_mov_b32_e32 v13, v5
	s_waitcnt lgkmcnt(0)
	v_pk_mul_f32 v[4:5], v[124:125], v[20:21] op_sel_hi:[0,1]
	v_pk_fma_f32 v[6:7], v[36:37], v[20:21], v[4:5] op_sel:[0,0,1] op_sel_hi:[1,1,0]
	v_pk_fma_f32 v[4:5], v[36:37], v[20:21], v[4:5] op_sel:[0,0,1] op_sel_hi:[0,1,0] neg_lo:[0,0,1] neg_hi:[0,0,1]
	v_mov_b32_e32 v7, v5
	v_pk_mul_f32 v[4:5], v[106:107], v[18:19] op_sel:[1,0]
	s_nop 0
	v_pk_fma_f32 v[20:21], v[106:107], v[18:19], v[4:5] op_sel:[0,0,1] op_sel_hi:[1,1,0]
	v_pk_fma_f32 v[4:5], v[106:107], v[18:19], v[4:5] op_sel:[0,0,1] op_sel_hi:[0,1,0] neg_lo:[0,0,1] neg_hi:[0,0,1]
	v_mov_b32_e32 v21, v5
	v_pk_add_f32 v[18:19], v[8:9], v[6:7] neg_lo:[0,1] neg_hi:[0,1]
	v_pk_add_f32 v[6:7], v[12:13], v[20:21] neg_lo:[0,1] neg_hi:[0,1]
	v_pk_fma_f32 v[4:5], v[8:9], 2.0, v[18:19] op_sel_hi:[1,0,1] neg_lo:[0,0,1] neg_hi:[0,0,1]
	v_pk_fma_f32 v[8:9], v[12:13], 2.0, v[6:7] op_sel_hi:[1,0,1] neg_lo:[0,0,1] neg_hi:[0,0,1]
	v_pk_add_f32 v[20:21], v[18:19], v[6:7] op_sel:[0,1] op_sel_hi:[1,0]
	v_pk_add_f32 v[8:9], v[4:5], v[8:9] neg_lo:[0,1] neg_hi:[0,1]
	s_nop 0
	v_pk_fma_f32 v[12:13], v[4:5], 2.0, v[8:9] op_sel_hi:[1,0,1] neg_lo:[0,0,1] neg_hi:[0,0,1]
	v_pk_add_f32 v[4:5], v[18:19], v[6:7] op_sel:[0,1] op_sel_hi:[1,0] neg_lo:[0,1] neg_hi:[0,1]
	s_nop 0
	v_mov_b32_e32 v21, v5
	ds_read2st64_b64 v[4:7], v103 offset0:16 offset1:18
	v_pk_fma_f32 v[18:19], v[18:19], 2.0, v[20:21] op_sel_hi:[1,0,1] neg_lo:[0,0,1] neg_hi:[0,0,1]
	ds_write2st64_b64 v103, v[30:31], v[18:19] offset0:12 offset1:14
	ds_write2st64_b64 v103, v[16:17], v[20:21] offset0:32 offset1:34
	ds_read2st64_b64 v[16:19], v103 offset0:36 offset1:38
	s_waitcnt lgkmcnt(3)
	v_pk_mul_f32 v[20:21], v[38:39], v[4:5] op_sel:[1,0]
	s_nop 0
	v_pk_fma_f32 v[30:31], v[38:39], v[4:5], v[20:21] op_sel:[0,0,1] op_sel_hi:[1,1,0]
	v_pk_fma_f32 v[4:5], v[38:39], v[4:5], v[20:21] op_sel:[0,0,1] op_sel_hi:[0,1,0] neg_lo:[0,0,1] neg_hi:[0,0,1]
	v_mov_b32_e32 v31, v5
	v_pk_mul_f32 v[4:5], v[120:121], v[22:23] op_sel_hi:[0,1]
	v_pk_fma_f32 v[20:21], v[40:41], v[22:23], v[4:5] op_sel:[0,0,1] op_sel_hi:[1,1,0]
	v_pk_fma_f32 v[4:5], v[40:41], v[22:23], v[4:5] op_sel:[0,0,1] op_sel_hi:[0,1,0] neg_lo:[0,0,1] neg_hi:[0,0,1]
	v_mov_b32_e32 v21, v5
	s_waitcnt lgkmcnt(0)
	v_pk_mul_f32 v[4:5], v[110:111], v[16:17] op_sel:[1,0]
	s_nop 0
	v_pk_fma_f32 v[22:23], v[110:111], v[16:17], v[4:5] op_sel:[0,0,1] op_sel_hi:[1,1,0]
	v_pk_fma_f32 v[4:5], v[110:111], v[16:17], v[4:5] op_sel:[0,0,1] op_sel_hi:[0,1,0] neg_lo:[0,0,1] neg_hi:[0,0,1]
	v_mov_b32_e32 v23, v5
	v_pk_add_f32 v[4:5], v[10:11], v[20:21] neg_lo:[0,1] neg_hi:[0,1]
	v_pk_add_f32 v[16:17], v[30:31], v[22:23] neg_lo:[0,1] neg_hi:[0,1]
	v_pk_fma_f32 v[10:11], v[10:11], 2.0, v[4:5] op_sel_hi:[1,0,1] neg_lo:[0,0,1] neg_hi:[0,0,1]
	v_pk_fma_f32 v[20:21], v[30:31], 2.0, v[16:17] op_sel_hi:[1,0,1] neg_lo:[0,0,1] neg_hi:[0,0,1]
	s_nop 0
	v_pk_add_f32 v[20:21], v[10:11], v[20:21] neg_lo:[0,1] neg_hi:[0,1]
	ds_write2st64_b64 v103, v[8:9], v[20:21] offset0:24 offset1:26
	v_pk_fma_f32 v[10:11], v[10:11], 2.0, v[20:21] op_sel_hi:[1,0,1] neg_lo:[0,0,1] neg_hi:[0,0,1]
	ds_write2st64_b64 v103, v[12:13], v[10:11] offset0:4 offset1:6
	v_pk_add_f32 v[10:11], v[4:5], v[16:17] op_sel:[0,1] op_sel_hi:[1,0]
	v_pk_add_f32 v[12:13], v[4:5], v[16:17] op_sel:[0,1] op_sel_hi:[1,0] neg_lo:[0,1] neg_hi:[0,1]
	v_pk_mul_f32 v[8:9], v[42:43], v[6:7] op_sel:[1,0]
	v_mov_b32_e32 v11, v13
	v_pk_fma_f32 v[12:13], v[42:43], v[6:7], v[8:9] op_sel:[0,0,1] op_sel_hi:[1,1,0]
	v_pk_fma_f32 v[6:7], v[42:43], v[6:7], v[8:9] op_sel:[0,0,1] op_sel_hi:[0,1,0] neg_lo:[0,0,1] neg_hi:[0,0,1]
	v_mov_b32_e32 v13, v7
	v_pk_mul_f32 v[6:7], v[122:123], v[14:15] op_sel_hi:[0,1]
	v_pk_fma_f32 v[8:9], v[44:45], v[14:15], v[6:7] op_sel:[0,0,1] op_sel_hi:[1,1,0]
	v_pk_fma_f32 v[6:7], v[44:45], v[14:15], v[6:7] op_sel:[0,0,1] op_sel_hi:[0,1,0] neg_lo:[0,0,1] neg_hi:[0,0,1]
	v_mov_b32_e32 v9, v7
	v_pk_mul_f32 v[6:7], v[116:117], v[18:19] op_sel:[1,0]
	v_pk_fma_f32 v[4:5], v[4:5], 2.0, v[10:11] op_sel_hi:[1,0,1] neg_lo:[0,0,1] neg_hi:[0,0,1]
	v_pk_fma_f32 v[14:15], v[116:117], v[18:19], v[6:7] op_sel:[0,0,1] op_sel_hi:[1,1,0]
	v_pk_fma_f32 v[6:7], v[116:117], v[18:19], v[6:7] op_sel:[0,0,1] op_sel_hi:[0,1,0] neg_lo:[0,0,1] neg_hi:[0,0,1]
	v_mov_b32_e32 v15, v7
	v_pk_add_f32 v[6:7], v[2:3], v[8:9] neg_lo:[0,1] neg_hi:[0,1]
	v_pk_add_f32 v[8:9], v[12:13], v[14:15] neg_lo:[0,1] neg_hi:[0,1]
	v_pk_fma_f32 v[2:3], v[2:3], 2.0, v[6:7] op_sel_hi:[1,0,1] neg_lo:[0,0,1] neg_hi:[0,0,1]
	v_pk_fma_f32 v[12:13], v[12:13], 2.0, v[8:9] op_sel_hi:[1,0,1] neg_lo:[0,0,1] neg_hi:[0,0,1]
	s_nop 0
	v_pk_add_f32 v[12:13], v[2:3], v[12:13] neg_lo:[0,1] neg_hi:[0,1]
	s_nop 0
	v_pk_fma_f32 v[2:3], v[2:3], 2.0, v[12:13] op_sel_hi:[1,0,1] neg_lo:[0,0,1] neg_hi:[0,0,1]
	ds_write2st64_b64 v103, v[2:3], v[28:29] offset0:8 offset1:10
	v_pk_add_f32 v[2:3], v[6:7], v[8:9] op_sel:[0,1] op_sel_hi:[1,0]
	v_pk_add_f32 v[8:9], v[6:7], v[8:9] op_sel:[0,1] op_sel_hi:[1,0] neg_lo:[0,1] neg_hi:[0,1]
	s_nop 0
	v_mov_b32_e32 v3, v9
	v_pk_fma_f32 v[6:7], v[6:7], 2.0, v[2:3] op_sel_hi:[1,0,1] neg_lo:[0,0,1] neg_hi:[0,0,1]
	ds_write2st64_b64 v103, v[4:5], v[6:7] offset0:16 offset1:18
	ds_write2st64_b64 v103, v[12:13], v[26:27] offset0:28 offset1:30
	;; [unrolled: 1-line block ×3, first 2 shown]
	s_waitcnt lgkmcnt(0)
	s_barrier
	ds_read2st64_b64 v[4:7], v103 offset1:2
	v_mov_b32_e32 v2, v25
	v_mad_u64_u32 v[2:3], s[0:1], s7, v68, v[2:3]
	s_mov_b32 s0, 0x9999999a
	s_waitcnt lgkmcnt(0)
	v_mul_f32_e32 v1, v75, v5
	v_fmac_f32_e32 v1, v74, v4
	v_mov_b32_e32 v25, v2
	v_cvt_f64_f32_e32 v[2:3], v1
	s_mov_b32 s1, 0x3f399999
	v_mul_f32_e32 v1, v75, v4
	v_mul_f64 v[2:3], v[2:3], s[0:1]
	v_fma_f32 v1, v74, v5, -v1
	v_cvt_f32_f64_e32 v8, v[2:3]
	v_cvt_f64_f32_e32 v[2:3], v1
	v_mul_f64 v[2:3], v[2:3], s[0:1]
	v_mad_u64_u32 v[4:5], s[2:3], s4, v0, 0
	v_cvt_f32_f64_e32 v9, v[2:3]
	v_mov_b32_e32 v2, v5
	v_mad_u64_u32 v[10:11], s[2:3], s5, v0, v[2:3]
	ds_read2st64_b64 v[0:3], v103 offset0:8 offset1:10
	v_mov_b32_e32 v5, v10
	v_lshl_add_u64 v[10:11], v[24:25], 3, v[108:109]
	v_lshl_add_u64 v[4:5], v[4:5], 3, v[10:11]
	global_store_dwordx2 v[4:5], v[8:9], off
	s_waitcnt lgkmcnt(0)
	v_mul_f32_e32 v8, v67, v3
	v_fmac_f32_e32 v8, v66, v2
	v_cvt_f64_f32_e32 v[8:9], v8
	v_mul_f64 v[8:9], v[8:9], s[0:1]
	v_cvt_f32_f64_e32 v12, v[8:9]
	ds_read2st64_b64 v[8:11], v103 offset0:20 offset1:22
	v_mul_f32_e32 v2, v67, v2
	v_fma_f32 v2, v66, v3, -v2
	v_cvt_f64_f32_e32 v[2:3], v2
	v_mul_f64 v[2:3], v[2:3], s[0:1]
	v_cvt_f32_f64_e32 v13, v[2:3]
	s_waitcnt lgkmcnt(0)
	v_mul_f32_e32 v2, v87, v9
	v_mad_u64_u32 v[14:15], s[2:3], s4, v69, v[4:5]
	v_fmac_f32_e32 v2, v86, v8
	s_mul_i32 s2, s5, 0x1400
	v_cvt_f64_f32_e32 v[2:3], v2
	v_add_u32_e32 v15, s2, v15
	v_mul_f64 v[2:3], v[2:3], s[0:1]
	global_store_dwordx2 v[14:15], v[12:13], off
	v_cvt_f32_f64_e32 v12, v[2:3]
	v_mul_f32_e32 v2, v87, v8
	v_fma_f32 v2, v86, v9, -v2
	v_cvt_f64_f32_e32 v[2:3], v2
	v_mul_f64 v[2:3], v[2:3], s[0:1]
	v_cvt_f32_f64_e32 v13, v[2:3]
	ds_read2st64_b64 v[2:5], v103 offset0:28 offset1:30
	v_mad_u64_u32 v[8:9], s[6:7], s4, v69, v[14:15]
	v_add_u32_e32 v9, s2, v9
	global_store_dwordx2 v[8:9], v[12:13], off
	s_waitcnt lgkmcnt(0)
	v_mul_f32_e32 v12, v85, v5
	v_fmac_f32_e32 v12, v84, v4
	v_mul_f32_e32 v4, v85, v4
	v_fma_f32 v4, v84, v5, -v4
	v_cvt_f64_f32_e32 v[12:13], v12
	v_cvt_f64_f32_e32 v[4:5], v4
	v_mul_f64 v[12:13], v[12:13], s[0:1]
	v_mul_f64 v[4:5], v[4:5], s[0:1]
	v_cvt_f32_f64_e32 v12, v[12:13]
	v_cvt_f32_f64_e32 v13, v[4:5]
	v_mad_u64_u32 v[4:5], s[6:7], s4, v69, v[8:9]
	v_mul_f32_e32 v8, v83, v7
	v_fmac_f32_e32 v8, v82, v6
	v_mul_f32_e32 v6, v83, v6
	v_fma_f32 v6, v82, v7, -v6
	v_cvt_f64_f32_e32 v[8:9], v8
	v_cvt_f64_f32_e32 v[6:7], v6
	v_add_u32_e32 v5, s2, v5
	v_mul_f64 v[8:9], v[8:9], s[0:1]
	v_mul_f64 v[6:7], v[6:7], s[0:1]
	global_store_dwordx2 v[4:5], v[12:13], off
	v_cvt_f32_f64_e32 v8, v[8:9]
	v_cvt_f32_f64_e32 v9, v[6:7]
	v_mad_u64_u32 v[12:13], s[6:7], s4, v115, v[4:5]
	ds_read2st64_b64 v[4:7], v103 offset0:12 offset1:14
	s_mul_i32 s3, s5, 0xffffc800
	s_sub_i32 s3, s3, s4
	v_add_u32_e32 v13, s3, v13
	global_store_dwordx2 v[12:13], v[8:9], off
	s_waitcnt lgkmcnt(0)
	v_mul_f32_e32 v8, v81, v5
	v_fmac_f32_e32 v8, v80, v4
	v_mul_f32_e32 v4, v81, v4
	v_fma_f32 v4, v80, v5, -v4
	v_cvt_f64_f32_e32 v[8:9], v8
	v_cvt_f64_f32_e32 v[4:5], v4
	v_mul_f64 v[8:9], v[8:9], s[0:1]
	v_mul_f64 v[4:5], v[4:5], s[0:1]
	v_cvt_f32_f64_e32 v8, v[8:9]
	v_cvt_f32_f64_e32 v9, v[4:5]
	v_mad_u64_u32 v[4:5], s[6:7], s4, v69, v[12:13]
	v_add_u32_e32 v5, s2, v5
	global_store_dwordx2 v[4:5], v[8:9], off
	v_mul_f32_e32 v8, v79, v11
	v_fmac_f32_e32 v8, v78, v10
	v_cvt_f64_f32_e32 v[8:9], v8
	v_mul_f64 v[8:9], v[8:9], s[0:1]
	v_cvt_f32_f64_e32 v12, v[8:9]
	v_mul_f32_e32 v8, v79, v10
	v_fma_f32 v8, v78, v11, -v8
	v_cvt_f64_f32_e32 v[8:9], v8
	v_mul_f64 v[8:9], v[8:9], s[0:1]
	v_cvt_f32_f64_e32 v13, v[8:9]
	ds_read2st64_b64 v[8:11], v103 offset0:32 offset1:34
	v_mad_u64_u32 v[4:5], s[6:7], s4, v69, v[4:5]
	v_add_u32_e32 v5, s2, v5
	global_store_dwordx2 v[4:5], v[12:13], off
	s_waitcnt lgkmcnt(0)
	v_mul_f32_e32 v12, v71, v9
	v_fmac_f32_e32 v12, v70, v8
	v_cvt_f64_f32_e32 v[12:13], v12
	v_mul_f64 v[12:13], v[12:13], s[0:1]
	v_cvt_f32_f64_e32 v16, v[12:13]
	ds_read2st64_b64 v[12:15], v103 offset0:4 offset1:6
	v_mul_f32_e32 v8, v71, v8
	v_fma_f32 v8, v70, v9, -v8
	v_cvt_f64_f32_e32 v[8:9], v8
	v_mul_f64 v[8:9], v[8:9], s[0:1]
	v_cvt_f32_f64_e32 v17, v[8:9]
	s_waitcnt lgkmcnt(0)
	v_mul_f32_e32 v8, v63, v13
	v_fmac_f32_e32 v8, v62, v12
	v_cvt_f64_f32_e32 v[8:9], v8
	v_mul_f64 v[8:9], v[8:9], s[0:1]
	v_cvt_f32_f64_e32 v8, v[8:9]
	v_mul_f32_e32 v9, v63, v12
	v_fma_f32 v9, v62, v13, -v9
	v_mad_u64_u32 v[4:5], s[6:7], s4, v69, v[4:5]
	v_cvt_f64_f32_e32 v[12:13], v9
	v_add_u32_e32 v5, s2, v5
	v_mul_f64 v[12:13], v[12:13], s[0:1]
	global_store_dwordx2 v[4:5], v[16:17], off
	v_cvt_f32_f64_e32 v9, v[12:13]
	v_mad_u64_u32 v[12:13], s[6:7], s4, v115, v[4:5]
	v_mul_f32_e32 v4, v55, v7
	v_fmac_f32_e32 v4, v54, v6
	v_cvt_f64_f32_e32 v[4:5], v4
	v_add_u32_e32 v13, s3, v13
	v_mul_f64 v[4:5], v[4:5], s[0:1]
	global_store_dwordx2 v[12:13], v[8:9], off
	v_cvt_f32_f64_e32 v8, v[4:5]
	v_mul_f32_e32 v4, v55, v6
	v_fma_f32 v4, v54, v7, -v4
	v_cvt_f64_f32_e32 v[4:5], v4
	v_mul_f64 v[4:5], v[4:5], s[0:1]
	v_cvt_f32_f64_e32 v9, v[4:5]
	ds_read2st64_b64 v[4:7], v103 offset0:24 offset1:26
	v_mad_u64_u32 v[12:13], s[6:7], s4, v69, v[12:13]
	v_add_u32_e32 v13, s2, v13
	global_store_dwordx2 v[12:13], v[8:9], off
	s_waitcnt lgkmcnt(0)
	v_mul_f32_e32 v8, v49, v5
	v_fmac_f32_e32 v8, v48, v4
	v_mul_f32_e32 v4, v49, v4
	v_fma_f32 v4, v48, v5, -v4
	v_cvt_f64_f32_e32 v[8:9], v8
	v_cvt_f64_f32_e32 v[4:5], v4
	v_mul_f64 v[8:9], v[8:9], s[0:1]
	v_mul_f64 v[4:5], v[4:5], s[0:1]
	v_cvt_f32_f64_e32 v8, v[8:9]
	v_cvt_f32_f64_e32 v9, v[4:5]
	v_mad_u64_u32 v[4:5], s[6:7], s4, v69, v[12:13]
	v_add_u32_e32 v5, s2, v5
	global_store_dwordx2 v[4:5], v[8:9], off
	v_mul_f32_e32 v8, v77, v11
	v_fmac_f32_e32 v8, v76, v10
	v_cvt_f64_f32_e32 v[8:9], v8
	v_mul_f64 v[8:9], v[8:9], s[0:1]
	v_cvt_f32_f64_e32 v8, v[8:9]
	v_mul_f32_e32 v9, v77, v10
	v_fma_f32 v9, v76, v11, -v9
	v_cvt_f64_f32_e32 v[10:11], v9
	v_mul_f64 v[10:11], v[10:11], s[0:1]
	v_mad_u64_u32 v[4:5], s[6:7], s4, v69, v[4:5]
	v_cvt_f32_f64_e32 v9, v[10:11]
	v_add_u32_e32 v5, s2, v5
	global_store_dwordx2 v[4:5], v[8:9], off
	v_mul_f32_e32 v8, v47, v15
	v_fmac_f32_e32 v8, v46, v14
	v_cvt_f64_f32_e32 v[8:9], v8
	v_mul_f64 v[8:9], v[8:9], s[0:1]
	v_cvt_f32_f64_e32 v12, v[8:9]
	v_mul_f32_e32 v8, v47, v14
	v_fma_f32 v8, v46, v15, -v8
	v_cvt_f64_f32_e32 v[8:9], v8
	v_mul_f64 v[8:9], v[8:9], s[0:1]
	v_cvt_f32_f64_e32 v13, v[8:9]
	ds_read2st64_b64 v[8:11], v103 offset0:16 offset1:18
	v_mad_u64_u32 v[4:5], s[6:7], s4, v115, v[4:5]
	v_add_u32_e32 v5, s3, v5
	global_store_dwordx2 v[4:5], v[12:13], off
	s_waitcnt lgkmcnt(0)
	v_mul_f32_e32 v12, v73, v9
	v_fmac_f32_e32 v12, v72, v8
	v_mul_f32_e32 v8, v73, v8
	v_fma_f32 v8, v72, v9, -v8
	v_cvt_f64_f32_e32 v[12:13], v12
	v_cvt_f64_f32_e32 v[8:9], v8
	v_mul_f64 v[12:13], v[12:13], s[0:1]
	v_mul_f64 v[8:9], v[8:9], s[0:1]
	v_cvt_f32_f64_e32 v12, v[12:13]
	v_cvt_f32_f64_e32 v13, v[8:9]
	v_mad_u64_u32 v[8:9], s[6:7], s4, v69, v[4:5]
	v_mul_f32_e32 v4, v65, v7
	v_fmac_f32_e32 v4, v64, v6
	v_cvt_f64_f32_e32 v[4:5], v4
	v_add_u32_e32 v9, s2, v9
	v_mul_f64 v[4:5], v[4:5], s[0:1]
	global_store_dwordx2 v[8:9], v[12:13], off
	v_cvt_f32_f64_e32 v12, v[4:5]
	v_mul_f32_e32 v4, v65, v6
	v_fma_f32 v4, v64, v7, -v4
	v_cvt_f64_f32_e32 v[4:5], v4
	v_mul_f64 v[4:5], v[4:5], s[0:1]
	v_cvt_f32_f64_e32 v13, v[4:5]
	ds_read2st64_b64 v[4:7], v103 offset0:36 offset1:38
	v_mad_u64_u32 v[8:9], s[6:7], s4, v69, v[8:9]
	v_add_u32_e32 v9, s2, v9
	global_store_dwordx2 v[8:9], v[12:13], off
	s_waitcnt lgkmcnt(0)
	v_mul_f32_e32 v12, v57, v5
	v_fmac_f32_e32 v12, v56, v4
	v_mul_f32_e32 v4, v57, v4
	v_fma_f32 v4, v56, v5, -v4
	v_cvt_f64_f32_e32 v[12:13], v12
	v_cvt_f64_f32_e32 v[4:5], v4
	v_mul_f64 v[12:13], v[12:13], s[0:1]
	v_mul_f64 v[4:5], v[4:5], s[0:1]
	v_cvt_f32_f64_e32 v12, v[12:13]
	v_cvt_f32_f64_e32 v13, v[4:5]
	v_mad_u64_u32 v[4:5], s[6:7], s4, v69, v[8:9]
	v_mul_f32_e32 v8, v61, v1
	v_fmac_f32_e32 v8, v60, v0
	v_mul_f32_e32 v0, v61, v0
	v_fma_f32 v0, v60, v1, -v0
	v_cvt_f64_f32_e32 v[8:9], v8
	v_cvt_f64_f32_e32 v[0:1], v0
	v_add_u32_e32 v5, s2, v5
	v_mul_f64 v[8:9], v[8:9], s[0:1]
	v_mul_f64 v[0:1], v[0:1], s[0:1]
	global_store_dwordx2 v[4:5], v[12:13], off
	v_cvt_f32_f64_e32 v8, v[8:9]
	v_cvt_f32_f64_e32 v9, v[0:1]
	v_mad_u64_u32 v[0:1], s[6:7], s4, v115, v[4:5]
	v_mul_f32_e32 v4, v59, v11
	v_fmac_f32_e32 v4, v58, v10
	v_cvt_f64_f32_e32 v[4:5], v4
	v_mul_f64 v[4:5], v[4:5], s[0:1]
	v_cvt_f32_f64_e32 v4, v[4:5]
	v_mul_f32_e32 v5, v59, v10
	v_add_u32_e32 v1, s3, v1
	v_fma_f32 v5, v58, v11, -v5
	global_store_dwordx2 v[0:1], v[8:9], off
	v_cvt_f64_f32_e32 v[8:9], v5
	v_mul_f64 v[8:9], v[8:9], s[0:1]
	v_mad_u64_u32 v[0:1], s[6:7], s4, v69, v[0:1]
	v_cvt_f32_f64_e32 v5, v[8:9]
	v_add_u32_e32 v1, s2, v1
	global_store_dwordx2 v[0:1], v[4:5], off
	v_mul_f32_e32 v4, v53, v3
	v_fmac_f32_e32 v4, v52, v2
	v_mul_f32_e32 v2, v53, v2
	v_fma_f32 v2, v52, v3, -v2
	v_cvt_f64_f32_e32 v[4:5], v4
	v_cvt_f64_f32_e32 v[2:3], v2
	v_mul_f64 v[4:5], v[4:5], s[0:1]
	v_mul_f64 v[2:3], v[2:3], s[0:1]
	v_cvt_f32_f64_e32 v4, v[4:5]
	v_cvt_f32_f64_e32 v5, v[2:3]
	v_mul_f32_e32 v2, v51, v7
	v_fmac_f32_e32 v2, v50, v6
	v_cvt_f64_f32_e32 v[2:3], v2
	v_mul_f64 v[2:3], v[2:3], s[0:1]
	v_mad_u64_u32 v[0:1], s[6:7], s4, v69, v[0:1]
	v_cvt_f32_f64_e32 v2, v[2:3]
	v_mul_f32_e32 v3, v51, v6
	v_add_u32_e32 v1, s2, v1
	v_fma_f32 v3, v50, v7, -v3
	global_store_dwordx2 v[0:1], v[4:5], off
	v_cvt_f64_f32_e32 v[4:5], v3
	v_mul_f64 v[4:5], v[4:5], s[0:1]
	v_mad_u64_u32 v[0:1], s[0:1], s4, v69, v[0:1]
	v_cvt_f32_f64_e32 v3, v[4:5]
	v_add_u32_e32 v1, s2, v1
	global_store_dwordx2 v[0:1], v[2:3], off
.LBB0_2:
	s_endpgm
	.section	.rodata,"a",@progbits
	.p2align	6, 0x0
	.amdhsa_kernel bluestein_single_back_len2560_dim1_sp_op_CI_CI
		.amdhsa_group_segment_fixed_size 20480
		.amdhsa_private_segment_fixed_size 0
		.amdhsa_kernarg_size 104
		.amdhsa_user_sgpr_count 2
		.amdhsa_user_sgpr_dispatch_ptr 0
		.amdhsa_user_sgpr_queue_ptr 0
		.amdhsa_user_sgpr_kernarg_segment_ptr 1
		.amdhsa_user_sgpr_dispatch_id 0
		.amdhsa_user_sgpr_kernarg_preload_length 0
		.amdhsa_user_sgpr_kernarg_preload_offset 0
		.amdhsa_user_sgpr_private_segment_size 0
		.amdhsa_uses_dynamic_stack 0
		.amdhsa_enable_private_segment 0
		.amdhsa_system_sgpr_workgroup_id_x 1
		.amdhsa_system_sgpr_workgroup_id_y 0
		.amdhsa_system_sgpr_workgroup_id_z 0
		.amdhsa_system_sgpr_workgroup_info 0
		.amdhsa_system_vgpr_workitem_id 0
		.amdhsa_next_free_vgpr 210
		.amdhsa_next_free_sgpr 22
		.amdhsa_accum_offset 212
		.amdhsa_reserve_vcc 1
		.amdhsa_float_round_mode_32 0
		.amdhsa_float_round_mode_16_64 0
		.amdhsa_float_denorm_mode_32 3
		.amdhsa_float_denorm_mode_16_64 3
		.amdhsa_dx10_clamp 1
		.amdhsa_ieee_mode 1
		.amdhsa_fp16_overflow 0
		.amdhsa_tg_split 0
		.amdhsa_exception_fp_ieee_invalid_op 0
		.amdhsa_exception_fp_denorm_src 0
		.amdhsa_exception_fp_ieee_div_zero 0
		.amdhsa_exception_fp_ieee_overflow 0
		.amdhsa_exception_fp_ieee_underflow 0
		.amdhsa_exception_fp_ieee_inexact 0
		.amdhsa_exception_int_div_zero 0
	.end_amdhsa_kernel
	.text
.Lfunc_end0:
	.size	bluestein_single_back_len2560_dim1_sp_op_CI_CI, .Lfunc_end0-bluestein_single_back_len2560_dim1_sp_op_CI_CI
                                        ; -- End function
	.section	.AMDGPU.csdata,"",@progbits
; Kernel info:
; codeLenInByte = 16536
; NumSgprs: 28
; NumVgprs: 210
; NumAgprs: 0
; TotalNumVgprs: 210
; ScratchSize: 0
; MemoryBound: 0
; FloatMode: 240
; IeeeMode: 1
; LDSByteSize: 20480 bytes/workgroup (compile time only)
; SGPRBlocks: 3
; VGPRBlocks: 26
; NumSGPRsForWavesPerEU: 28
; NumVGPRsForWavesPerEU: 210
; AccumOffset: 212
; Occupancy: 2
; WaveLimiterHint : 1
; COMPUTE_PGM_RSRC2:SCRATCH_EN: 0
; COMPUTE_PGM_RSRC2:USER_SGPR: 2
; COMPUTE_PGM_RSRC2:TRAP_HANDLER: 0
; COMPUTE_PGM_RSRC2:TGID_X_EN: 1
; COMPUTE_PGM_RSRC2:TGID_Y_EN: 0
; COMPUTE_PGM_RSRC2:TGID_Z_EN: 0
; COMPUTE_PGM_RSRC2:TIDIG_COMP_CNT: 0
; COMPUTE_PGM_RSRC3_GFX90A:ACCUM_OFFSET: 52
; COMPUTE_PGM_RSRC3_GFX90A:TG_SPLIT: 0
	.text
	.p2alignl 6, 3212836864
	.fill 256, 4, 3212836864
	.type	__hip_cuid_4664aa85de8a6e79,@object ; @__hip_cuid_4664aa85de8a6e79
	.section	.bss,"aw",@nobits
	.globl	__hip_cuid_4664aa85de8a6e79
__hip_cuid_4664aa85de8a6e79:
	.byte	0                               ; 0x0
	.size	__hip_cuid_4664aa85de8a6e79, 1

	.ident	"AMD clang version 19.0.0git (https://github.com/RadeonOpenCompute/llvm-project roc-6.4.0 25133 c7fe45cf4b819c5991fe208aaa96edf142730f1d)"
	.section	".note.GNU-stack","",@progbits
	.addrsig
	.addrsig_sym __hip_cuid_4664aa85de8a6e79
	.amdgpu_metadata
---
amdhsa.kernels:
  - .agpr_count:     0
    .args:
      - .actual_access:  read_only
        .address_space:  global
        .offset:         0
        .size:           8
        .value_kind:     global_buffer
      - .actual_access:  read_only
        .address_space:  global
        .offset:         8
        .size:           8
        .value_kind:     global_buffer
      - .actual_access:  read_only
        .address_space:  global
        .offset:         16
        .size:           8
        .value_kind:     global_buffer
      - .actual_access:  read_only
        .address_space:  global
        .offset:         24
        .size:           8
        .value_kind:     global_buffer
      - .actual_access:  read_only
        .address_space:  global
        .offset:         32
        .size:           8
        .value_kind:     global_buffer
      - .offset:         40
        .size:           8
        .value_kind:     by_value
      - .address_space:  global
        .offset:         48
        .size:           8
        .value_kind:     global_buffer
      - .address_space:  global
        .offset:         56
        .size:           8
        .value_kind:     global_buffer
      - .address_space:  global
        .offset:         64
        .size:           8
        .value_kind:     global_buffer
      - .address_space:  global
        .offset:         72
        .size:           8
        .value_kind:     global_buffer
      - .offset:         80
        .size:           4
        .value_kind:     by_value
      - .address_space:  global
        .offset:         88
        .size:           8
        .value_kind:     global_buffer
      - .address_space:  global
        .offset:         96
        .size:           8
        .value_kind:     global_buffer
    .group_segment_fixed_size: 20480
    .kernarg_segment_align: 8
    .kernarg_segment_size: 104
    .language:       OpenCL C
    .language_version:
      - 2
      - 0
    .max_flat_workgroup_size: 128
    .name:           bluestein_single_back_len2560_dim1_sp_op_CI_CI
    .private_segment_fixed_size: 0
    .sgpr_count:     28
    .sgpr_spill_count: 0
    .symbol:         bluestein_single_back_len2560_dim1_sp_op_CI_CI.kd
    .uniform_work_group_size: 1
    .uses_dynamic_stack: false
    .vgpr_count:     210
    .vgpr_spill_count: 0
    .wavefront_size: 64
amdhsa.target:   amdgcn-amd-amdhsa--gfx950
amdhsa.version:
  - 1
  - 2
...

	.end_amdgpu_metadata
